;; amdgpu-corpus repo=pytorch/pytorch kind=compiled arch=gfx906 opt=O3
	.amdgcn_target "amdgcn-amd-amdhsa--gfx906"
	.amdhsa_code_object_version 6
	.section	.text._ZN2at6native16roll_cuda_kernelIhEEvPKT_PS2_llllll,"axG",@progbits,_ZN2at6native16roll_cuda_kernelIhEEvPKT_PS2_llllll,comdat
	.protected	_ZN2at6native16roll_cuda_kernelIhEEvPKT_PS2_llllll ; -- Begin function _ZN2at6native16roll_cuda_kernelIhEEvPKT_PS2_llllll
	.globl	_ZN2at6native16roll_cuda_kernelIhEEvPKT_PS2_llllll
	.p2align	8
	.type	_ZN2at6native16roll_cuda_kernelIhEEvPKT_PS2_llllll,@function
_ZN2at6native16roll_cuda_kernelIhEEvPKT_PS2_llllll: ; @_ZN2at6native16roll_cuda_kernelIhEEvPKT_PS2_llllll
; %bb.0:
	s_load_dword s2, s[4:5], 0x4c
	s_load_dwordx2 s[12:13], s[4:5], 0x10
	s_add_u32 s0, s4, 64
	v_mov_b32_e32 v2, 0
	s_addc_u32 s1, s5, 0
	s_waitcnt lgkmcnt(0)
	s_and_b32 s2, s2, 0xffff
	v_mov_b32_e32 v1, v2
	v_mov_b32_e32 v3, s6
	v_mad_u64_u32 v[0:1], s[6:7], s2, v3, v[0:1]
	v_cmp_gt_i64_e32 vcc, s[12:13], v[0:1]
	s_and_saveexec_b64 s[6:7], vcc
	s_cbranch_execz .LBB0_11
; %bb.1:
	s_load_dwordx2 s[6:7], s[4:5], 0x30
	s_load_dwordx4 s[16:19], s[4:5], 0x20
	s_load_dwordx4 s[8:11], s[4:5], 0x0
	s_load_dword s3, s[0:1], 0x0
	s_waitcnt lgkmcnt(0)
	s_mul_i32 s0, s6, s19
	s_mul_hi_u32 s1, s6, s18
	s_add_i32 s0, s1, s0
	s_mul_i32 s1, s7, s18
	s_add_i32 s22, s0, s1
	s_sub_u32 s4, s18, s16
	s_subb_u32 s5, s19, s17
	s_mul_i32 s0, s4, s7
	s_mul_hi_u32 s1, s4, s6
	s_mul_i32 s14, s6, s17
	s_mul_hi_u32 s15, s6, s16
	s_add_i32 s0, s1, s0
	s_mul_i32 s1, s5, s6
	s_add_i32 s14, s15, s14
	s_mul_i32 s15, s7, s16
	;; [unrolled: 2-line block ×3, first 2 shown]
	s_add_i32 s24, s14, s15
	s_sub_u32 s27, 0, s1
	s_mul_i32 s23, s6, s18
	s_mul_i32 s25, s6, s16
	;; [unrolled: 1-line block ×3, first 2 shown]
	s_mov_b64 s[14:15], 0
	s_subb_u32 s28, 0, s0
	s_ashr_i32 s16, s22, 31
	s_branch .LBB0_3
.LBB0_2:                                ;   in Loop: Header=BB0_3 Depth=1
	s_or_b64 exec, exec, s[0:1]
	v_cmp_gt_i64_e32 vcc, s[4:5], v[6:7]
	v_mov_b32_e32 v3, s28
	v_mov_b32_e32 v4, s24
	v_cndmask_b32_e32 v3, v3, v4, vcc
	v_mov_b32_e32 v4, s27
	v_mov_b32_e32 v5, s25
	v_cndmask_b32_e32 v4, v4, v5, vcc
	v_add_co_u32_e32 v4, vcc, v4, v0
	v_addc_co_u32_e32 v5, vcc, v3, v1, vcc
	v_mov_b32_e32 v6, s9
	v_add_co_u32_e32 v3, vcc, s8, v4
	v_addc_co_u32_e32 v4, vcc, v6, v5, vcc
	global_load_ubyte v5, v[3:4], off
	v_mov_b32_e32 v4, s11
	v_add_co_u32_e32 v3, vcc, s10, v0
	v_addc_co_u32_e32 v4, vcc, v4, v1, vcc
	v_add_co_u32_e32 v0, vcc, s26, v0
	v_addc_co_u32_e32 v1, vcc, 0, v1, vcc
	v_cmp_le_i64_e32 vcc, s[12:13], v[0:1]
	s_or_b64 s[14:15], vcc, s[14:15]
	s_waitcnt vmcnt(0)
	global_store_byte v[3:4], v5, off
	s_andn2_b64 exec, exec, s[14:15]
	s_cbranch_execz .LBB0_11
.LBB0_3:                                ; =>This Inner Loop Header: Depth=1
	v_or_b32_e32 v3, s22, v1
	v_cmp_ne_u64_e32 vcc, 0, v[2:3]
                                        ; implicit-def: $vgpr4_vgpr5
	s_and_saveexec_b64 s[0:1], vcc
	s_xor_b64 s[18:19], exec, s[0:1]
	s_cbranch_execz .LBB0_5
; %bb.4:                                ;   in Loop: Header=BB0_3 Depth=1
	s_add_u32 s0, s23, s16
	s_mov_b32 s17, s16
	s_addc_u32 s1, s22, s16
	s_xor_b64 s[20:21], s[0:1], s[16:17]
	v_cvt_f32_u32_e32 v3, s20
	v_cvt_f32_u32_e32 v4, s21
	s_sub_u32 s2, 0, s20
	s_subb_u32 s3, 0, s21
	v_ashrrev_i32_e32 v7, 31, v1
	v_mac_f32_e32 v3, 0x4f800000, v4
	v_rcp_f32_e32 v3, v3
	v_mul_f32_e32 v3, 0x5f7ffffc, v3
	v_mul_f32_e32 v4, 0x2f800000, v3
	v_trunc_f32_e32 v4, v4
	v_mac_f32_e32 v3, 0xcf800000, v4
	v_cvt_u32_f32_e32 v4, v4
	v_cvt_u32_f32_e32 v3, v3
	v_readfirstlane_b32 s17, v4
	v_readfirstlane_b32 s0, v3
	s_mul_i32 s1, s2, s17
	s_mul_hi_u32 s30, s2, s0
	s_mul_i32 s29, s3, s0
	s_add_i32 s1, s30, s1
	s_add_i32 s1, s1, s29
	s_mul_i32 s31, s2, s0
	s_mul_i32 s30, s0, s1
	s_mul_hi_u32 s33, s0, s31
	s_mul_hi_u32 s29, s0, s1
	s_add_u32 s30, s33, s30
	s_addc_u32 s29, 0, s29
	s_mul_hi_u32 s34, s17, s31
	s_mul_i32 s31, s17, s31
	s_add_u32 s30, s30, s31
	s_mul_hi_u32 s33, s17, s1
	s_addc_u32 s29, s29, s34
	s_addc_u32 s30, s33, 0
	s_mul_i32 s1, s17, s1
	s_add_u32 s1, s29, s1
	s_addc_u32 s29, 0, s30
	s_add_u32 s30, s0, s1
	s_cselect_b64 s[0:1], -1, 0
	s_cmp_lg_u64 s[0:1], 0
	s_addc_u32 s17, s17, s29
	s_mul_i32 s0, s2, s17
	s_mul_hi_u32 s1, s2, s30
	s_add_i32 s0, s1, s0
	s_mul_i32 s3, s3, s30
	s_add_i32 s0, s0, s3
	s_mul_i32 s2, s2, s30
	s_mul_hi_u32 s3, s17, s2
	s_mul_i32 s29, s17, s2
	s_mul_i32 s33, s30, s0
	s_mul_hi_u32 s2, s30, s2
	s_mul_hi_u32 s31, s30, s0
	s_add_u32 s2, s2, s33
	s_addc_u32 s31, 0, s31
	s_add_u32 s2, s2, s29
	s_mul_hi_u32 s1, s17, s0
	s_addc_u32 s2, s31, s3
	s_addc_u32 s1, s1, 0
	s_mul_i32 s0, s17, s0
	s_add_u32 s0, s2, s0
	s_addc_u32 s2, 0, s1
	s_add_u32 s3, s30, s0
	s_cselect_b64 s[0:1], -1, 0
	s_cmp_lg_u64 s[0:1], 0
	v_add_co_u32_e32 v3, vcc, v0, v7
	s_addc_u32 s2, s17, s2
	v_xor_b32_e32 v8, v3, v7
	v_mad_u64_u32 v[3:4], s[0:1], v8, s2, 0
	v_mul_hi_u32 v6, v8, s3
	v_addc_co_u32_e32 v5, vcc, v1, v7, vcc
	v_xor_b32_e32 v9, v5, v7
	v_add_co_u32_e32 v10, vcc, v6, v3
	v_addc_co_u32_e32 v11, vcc, 0, v4, vcc
	v_mad_u64_u32 v[3:4], s[0:1], v9, s3, 0
	v_mad_u64_u32 v[5:6], s[0:1], v9, s2, 0
	v_add_co_u32_e32 v3, vcc, v10, v3
	v_addc_co_u32_e32 v3, vcc, v11, v4, vcc
	v_addc_co_u32_e32 v4, vcc, 0, v6, vcc
	v_add_co_u32_e32 v3, vcc, v3, v5
	v_addc_co_u32_e32 v4, vcc, 0, v4, vcc
	v_mul_lo_u32 v5, s21, v3
	v_mul_lo_u32 v6, s20, v4
	v_mad_u64_u32 v[3:4], s[0:1], s20, v3, 0
	v_add3_u32 v4, v4, v6, v5
	v_sub_u32_e32 v5, v9, v4
	v_mov_b32_e32 v6, s21
	v_sub_co_u32_e32 v3, vcc, v8, v3
	v_subb_co_u32_e64 v5, s[0:1], v5, v6, vcc
	v_subrev_co_u32_e64 v8, s[0:1], s20, v3
	v_subbrev_co_u32_e64 v10, s[2:3], 0, v5, s[0:1]
	v_cmp_le_u32_e64 s[2:3], s21, v10
	v_cndmask_b32_e64 v11, 0, -1, s[2:3]
	v_cmp_le_u32_e64 s[2:3], s20, v8
	v_subb_co_u32_e64 v5, s[0:1], v5, v6, s[0:1]
	v_cndmask_b32_e64 v12, 0, -1, s[2:3]
	v_cmp_eq_u32_e64 s[2:3], s21, v10
	v_subrev_co_u32_e64 v6, s[0:1], s20, v8
	v_subb_co_u32_e32 v4, vcc, v9, v4, vcc
	v_cndmask_b32_e64 v11, v11, v12, s[2:3]
	v_subbrev_co_u32_e64 v5, s[0:1], 0, v5, s[0:1]
	v_cmp_le_u32_e32 vcc, s21, v4
	v_cmp_ne_u32_e64 s[0:1], 0, v11
	v_cndmask_b32_e64 v9, 0, -1, vcc
	v_cmp_le_u32_e32 vcc, s20, v3
	v_cndmask_b32_e64 v5, v10, v5, s[0:1]
	v_cndmask_b32_e64 v10, 0, -1, vcc
	v_cmp_eq_u32_e32 vcc, s21, v4
	v_cndmask_b32_e32 v9, v9, v10, vcc
	v_cmp_ne_u32_e32 vcc, 0, v9
	v_cndmask_b32_e32 v4, v4, v5, vcc
	v_cndmask_b32_e64 v5, v8, v6, s[0:1]
	v_cndmask_b32_e32 v3, v3, v5, vcc
	v_xor_b32_e32 v3, v3, v7
	v_xor_b32_e32 v5, v4, v7
	v_sub_co_u32_e32 v4, vcc, v3, v7
	v_subb_co_u32_e32 v5, vcc, v5, v7, vcc
.LBB0_5:                                ;   in Loop: Header=BB0_3 Depth=1
	s_andn2_saveexec_b64 s[0:1], s[18:19]
	s_cbranch_execz .LBB0_7
; %bb.6:                                ;   in Loop: Header=BB0_3 Depth=1
	v_cvt_f32_u32_e32 v3, s23
	s_sub_i32 s2, 0, s23
	v_mov_b32_e32 v5, v2
	v_rcp_iflag_f32_e32 v3, v3
	v_mul_f32_e32 v3, 0x4f7ffffe, v3
	v_cvt_u32_f32_e32 v3, v3
	v_mul_lo_u32 v4, s2, v3
	v_mul_hi_u32 v4, v3, v4
	v_add_u32_e32 v3, v3, v4
	v_mul_hi_u32 v3, v0, v3
	v_mul_lo_u32 v3, v3, s23
	v_sub_u32_e32 v3, v0, v3
	v_subrev_u32_e32 v4, s23, v3
	v_cmp_le_u32_e32 vcc, s23, v3
	v_cndmask_b32_e32 v3, v3, v4, vcc
	v_subrev_u32_e32 v4, s23, v3
	v_cmp_le_u32_e32 vcc, s23, v3
	v_cndmask_b32_e32 v4, v3, v4, vcc
.LBB0_7:                                ;   in Loop: Header=BB0_3 Depth=1
	s_or_b64 exec, exec, s[0:1]
	v_or_b32_e32 v3, s7, v5
	v_cmp_ne_u64_e32 vcc, 0, v[2:3]
                                        ; implicit-def: $vgpr6_vgpr7
	s_and_saveexec_b64 s[0:1], vcc
	s_xor_b64 s[2:3], exec, s[0:1]
	s_cbranch_execz .LBB0_9
; %bb.8:                                ;   in Loop: Header=BB0_3 Depth=1
	s_ashr_i32 s18, s7, 31
	s_add_u32 s0, s6, s18
	s_mov_b32 s19, s18
	s_addc_u32 s1, s7, s18
	s_xor_b64 s[20:21], s[0:1], s[18:19]
	v_cvt_f32_u32_e32 v3, s20
	v_cvt_f32_u32_e32 v6, s21
	s_sub_u32 s17, 0, s20
	s_subb_u32 s19, 0, s21
	v_ashrrev_i32_e32 v7, 31, v5
	v_mac_f32_e32 v3, 0x4f800000, v6
	v_rcp_f32_e32 v3, v3
	v_mul_f32_e32 v3, 0x5f7ffffc, v3
	v_mul_f32_e32 v6, 0x2f800000, v3
	v_trunc_f32_e32 v6, v6
	v_mac_f32_e32 v3, 0xcf800000, v6
	v_cvt_u32_f32_e32 v6, v6
	v_cvt_u32_f32_e32 v3, v3
	v_readfirstlane_b32 s29, v6
	v_readfirstlane_b32 s0, v3
	s_mul_i32 s1, s17, s29
	s_mul_hi_u32 s31, s17, s0
	s_mul_i32 s30, s19, s0
	s_add_i32 s1, s31, s1
	s_add_i32 s1, s1, s30
	s_mul_i32 s33, s17, s0
	s_mul_i32 s31, s0, s1
	s_mul_hi_u32 s34, s0, s33
	s_mul_hi_u32 s30, s0, s1
	s_add_u32 s31, s34, s31
	s_addc_u32 s30, 0, s30
	s_mul_hi_u32 s35, s29, s33
	s_mul_i32 s33, s29, s33
	s_add_u32 s31, s31, s33
	s_mul_hi_u32 s34, s29, s1
	s_addc_u32 s30, s30, s35
	s_addc_u32 s31, s34, 0
	s_mul_i32 s1, s29, s1
	s_add_u32 s1, s30, s1
	s_addc_u32 s30, 0, s31
	s_add_u32 s31, s0, s1
	s_cselect_b64 s[0:1], -1, 0
	s_cmp_lg_u64 s[0:1], 0
	s_addc_u32 s29, s29, s30
	s_mul_i32 s0, s17, s29
	s_mul_hi_u32 s1, s17, s31
	s_add_i32 s0, s1, s0
	s_mul_i32 s19, s19, s31
	s_add_i32 s0, s0, s19
	s_mul_i32 s17, s17, s31
	s_mul_hi_u32 s19, s29, s17
	s_mul_i32 s30, s29, s17
	s_mul_i32 s34, s31, s0
	s_mul_hi_u32 s17, s31, s17
	s_mul_hi_u32 s33, s31, s0
	s_add_u32 s17, s17, s34
	s_addc_u32 s33, 0, s33
	s_add_u32 s17, s17, s30
	s_mul_hi_u32 s1, s29, s0
	s_addc_u32 s17, s33, s19
	s_addc_u32 s1, s1, 0
	s_mul_i32 s0, s29, s0
	s_add_u32 s0, s17, s0
	s_addc_u32 s17, 0, s1
	s_add_u32 s19, s31, s0
	s_cselect_b64 s[0:1], -1, 0
	s_cmp_lg_u64 s[0:1], 0
	v_add_co_u32_e32 v3, vcc, v4, v7
	s_addc_u32 s17, s29, s17
	v_xor_b32_e32 v8, v3, v7
	v_mad_u64_u32 v[3:4], s[0:1], v8, s17, 0
	v_mul_hi_u32 v6, v8, s19
	v_addc_co_u32_e32 v5, vcc, v5, v7, vcc
	v_xor_b32_e32 v9, v5, v7
	v_add_co_u32_e32 v10, vcc, v6, v3
	v_addc_co_u32_e32 v11, vcc, 0, v4, vcc
	v_mad_u64_u32 v[3:4], s[0:1], v9, s19, 0
	v_mad_u64_u32 v[5:6], s[0:1], v9, s17, 0
	v_add_co_u32_e32 v3, vcc, v10, v3
	v_addc_co_u32_e32 v3, vcc, v11, v4, vcc
	v_addc_co_u32_e32 v4, vcc, 0, v6, vcc
	v_add_co_u32_e32 v5, vcc, v3, v5
	v_addc_co_u32_e32 v6, vcc, 0, v4, vcc
	v_mul_lo_u32 v10, s21, v5
	v_mul_lo_u32 v11, s20, v6
	v_mad_u64_u32 v[3:4], s[0:1], s20, v5, 0
	v_add3_u32 v4, v4, v11, v10
	v_sub_u32_e32 v10, v9, v4
	v_mov_b32_e32 v11, s21
	v_sub_co_u32_e32 v3, vcc, v8, v3
	v_subb_co_u32_e64 v8, s[0:1], v10, v11, vcc
	v_subrev_co_u32_e64 v10, s[0:1], s20, v3
	v_subbrev_co_u32_e64 v8, s[0:1], 0, v8, s[0:1]
	v_cmp_le_u32_e64 s[0:1], s21, v8
	v_cndmask_b32_e64 v11, 0, -1, s[0:1]
	v_cmp_le_u32_e64 s[0:1], s20, v10
	v_cndmask_b32_e64 v10, 0, -1, s[0:1]
	v_cmp_eq_u32_e64 s[0:1], s21, v8
	v_cndmask_b32_e64 v8, v11, v10, s[0:1]
	v_add_co_u32_e64 v10, s[0:1], 2, v5
	v_subb_co_u32_e32 v4, vcc, v9, v4, vcc
	v_addc_co_u32_e64 v11, s[0:1], 0, v6, s[0:1]
	v_cmp_le_u32_e32 vcc, s21, v4
	v_add_co_u32_e64 v12, s[0:1], 1, v5
	v_cndmask_b32_e64 v9, 0, -1, vcc
	v_cmp_le_u32_e32 vcc, s20, v3
	v_addc_co_u32_e64 v13, s[0:1], 0, v6, s[0:1]
	v_cndmask_b32_e64 v3, 0, -1, vcc
	v_cmp_eq_u32_e32 vcc, s21, v4
	v_cmp_ne_u32_e64 s[0:1], 0, v8
	v_cndmask_b32_e32 v3, v9, v3, vcc
	v_cmp_ne_u32_e32 vcc, 0, v3
	v_cndmask_b32_e64 v4, v12, v10, s[0:1]
	v_cndmask_b32_e64 v8, v13, v11, s[0:1]
	v_cndmask_b32_e32 v4, v5, v4, vcc
	v_xor_b32_e32 v5, s18, v7
	v_cndmask_b32_e32 v3, v6, v8, vcc
	v_xor_b32_e32 v4, v4, v5
	v_xor_b32_e32 v3, v3, v5
	v_sub_co_u32_e32 v6, vcc, v4, v5
	v_subb_co_u32_e32 v7, vcc, v3, v5, vcc
                                        ; implicit-def: $vgpr4_vgpr5
.LBB0_9:                                ;   in Loop: Header=BB0_3 Depth=1
	s_andn2_saveexec_b64 s[0:1], s[2:3]
	s_cbranch_execz .LBB0_2
; %bb.10:                               ;   in Loop: Header=BB0_3 Depth=1
	v_cvt_f32_u32_e32 v3, s6
	s_sub_i32 s2, 0, s6
	v_mov_b32_e32 v7, v2
	v_rcp_iflag_f32_e32 v3, v3
	v_mul_f32_e32 v3, 0x4f7ffffe, v3
	v_cvt_u32_f32_e32 v3, v3
	v_mul_lo_u32 v5, s2, v3
	v_mul_hi_u32 v5, v3, v5
	v_add_u32_e32 v3, v3, v5
	v_mul_hi_u32 v3, v4, v3
	v_mul_lo_u32 v5, v3, s6
	v_add_u32_e32 v6, 1, v3
	v_sub_u32_e32 v4, v4, v5
	v_subrev_u32_e32 v5, s6, v4
	v_cmp_le_u32_e32 vcc, s6, v4
	v_cndmask_b32_e32 v4, v4, v5, vcc
	v_cndmask_b32_e32 v3, v3, v6, vcc
	v_add_u32_e32 v5, 1, v3
	v_cmp_le_u32_e32 vcc, s6, v4
	v_cndmask_b32_e32 v6, v3, v5, vcc
	s_branch .LBB0_2
.LBB0_11:
	s_endpgm
	.section	.rodata,"a",@progbits
	.p2align	6, 0x0
	.amdhsa_kernel _ZN2at6native16roll_cuda_kernelIhEEvPKT_PS2_llllll
		.amdhsa_group_segment_fixed_size 0
		.amdhsa_private_segment_fixed_size 0
		.amdhsa_kernarg_size 320
		.amdhsa_user_sgpr_count 6
		.amdhsa_user_sgpr_private_segment_buffer 1
		.amdhsa_user_sgpr_dispatch_ptr 0
		.amdhsa_user_sgpr_queue_ptr 0
		.amdhsa_user_sgpr_kernarg_segment_ptr 1
		.amdhsa_user_sgpr_dispatch_id 0
		.amdhsa_user_sgpr_flat_scratch_init 0
		.amdhsa_user_sgpr_private_segment_size 0
		.amdhsa_uses_dynamic_stack 0
		.amdhsa_system_sgpr_private_segment_wavefront_offset 0
		.amdhsa_system_sgpr_workgroup_id_x 1
		.amdhsa_system_sgpr_workgroup_id_y 0
		.amdhsa_system_sgpr_workgroup_id_z 0
		.amdhsa_system_sgpr_workgroup_info 0
		.amdhsa_system_vgpr_workitem_id 0
		.amdhsa_next_free_vgpr 14
		.amdhsa_next_free_sgpr 36
		.amdhsa_reserve_vcc 1
		.amdhsa_reserve_flat_scratch 0
		.amdhsa_float_round_mode_32 0
		.amdhsa_float_round_mode_16_64 0
		.amdhsa_float_denorm_mode_32 3
		.amdhsa_float_denorm_mode_16_64 3
		.amdhsa_dx10_clamp 1
		.amdhsa_ieee_mode 1
		.amdhsa_fp16_overflow 0
		.amdhsa_exception_fp_ieee_invalid_op 0
		.amdhsa_exception_fp_denorm_src 0
		.amdhsa_exception_fp_ieee_div_zero 0
		.amdhsa_exception_fp_ieee_overflow 0
		.amdhsa_exception_fp_ieee_underflow 0
		.amdhsa_exception_fp_ieee_inexact 0
		.amdhsa_exception_int_div_zero 0
	.end_amdhsa_kernel
	.section	.text._ZN2at6native16roll_cuda_kernelIhEEvPKT_PS2_llllll,"axG",@progbits,_ZN2at6native16roll_cuda_kernelIhEEvPKT_PS2_llllll,comdat
.Lfunc_end0:
	.size	_ZN2at6native16roll_cuda_kernelIhEEvPKT_PS2_llllll, .Lfunc_end0-_ZN2at6native16roll_cuda_kernelIhEEvPKT_PS2_llllll
                                        ; -- End function
	.set _ZN2at6native16roll_cuda_kernelIhEEvPKT_PS2_llllll.num_vgpr, 14
	.set _ZN2at6native16roll_cuda_kernelIhEEvPKT_PS2_llllll.num_agpr, 0
	.set _ZN2at6native16roll_cuda_kernelIhEEvPKT_PS2_llllll.numbered_sgpr, 36
	.set _ZN2at6native16roll_cuda_kernelIhEEvPKT_PS2_llllll.num_named_barrier, 0
	.set _ZN2at6native16roll_cuda_kernelIhEEvPKT_PS2_llllll.private_seg_size, 0
	.set _ZN2at6native16roll_cuda_kernelIhEEvPKT_PS2_llllll.uses_vcc, 1
	.set _ZN2at6native16roll_cuda_kernelIhEEvPKT_PS2_llllll.uses_flat_scratch, 0
	.set _ZN2at6native16roll_cuda_kernelIhEEvPKT_PS2_llllll.has_dyn_sized_stack, 0
	.set _ZN2at6native16roll_cuda_kernelIhEEvPKT_PS2_llllll.has_recursion, 0
	.set _ZN2at6native16roll_cuda_kernelIhEEvPKT_PS2_llllll.has_indirect_call, 0
	.section	.AMDGPU.csdata,"",@progbits
; Kernel info:
; codeLenInByte = 1768
; TotalNumSgprs: 40
; NumVgprs: 14
; ScratchSize: 0
; MemoryBound: 0
; FloatMode: 240
; IeeeMode: 1
; LDSByteSize: 0 bytes/workgroup (compile time only)
; SGPRBlocks: 4
; VGPRBlocks: 3
; NumSGPRsForWavesPerEU: 40
; NumVGPRsForWavesPerEU: 14
; Occupancy: 10
; WaveLimiterHint : 0
; COMPUTE_PGM_RSRC2:SCRATCH_EN: 0
; COMPUTE_PGM_RSRC2:USER_SGPR: 6
; COMPUTE_PGM_RSRC2:TRAP_HANDLER: 0
; COMPUTE_PGM_RSRC2:TGID_X_EN: 1
; COMPUTE_PGM_RSRC2:TGID_Y_EN: 0
; COMPUTE_PGM_RSRC2:TGID_Z_EN: 0
; COMPUTE_PGM_RSRC2:TIDIG_COMP_CNT: 0
	.section	.text._ZN2at6native16roll_cuda_kernelIaEEvPKT_PS2_llllll,"axG",@progbits,_ZN2at6native16roll_cuda_kernelIaEEvPKT_PS2_llllll,comdat
	.protected	_ZN2at6native16roll_cuda_kernelIaEEvPKT_PS2_llllll ; -- Begin function _ZN2at6native16roll_cuda_kernelIaEEvPKT_PS2_llllll
	.globl	_ZN2at6native16roll_cuda_kernelIaEEvPKT_PS2_llllll
	.p2align	8
	.type	_ZN2at6native16roll_cuda_kernelIaEEvPKT_PS2_llllll,@function
_ZN2at6native16roll_cuda_kernelIaEEvPKT_PS2_llllll: ; @_ZN2at6native16roll_cuda_kernelIaEEvPKT_PS2_llllll
; %bb.0:
	s_load_dword s2, s[4:5], 0x4c
	s_load_dwordx2 s[12:13], s[4:5], 0x10
	s_add_u32 s0, s4, 64
	v_mov_b32_e32 v2, 0
	s_addc_u32 s1, s5, 0
	s_waitcnt lgkmcnt(0)
	s_and_b32 s2, s2, 0xffff
	v_mov_b32_e32 v1, v2
	v_mov_b32_e32 v3, s6
	v_mad_u64_u32 v[0:1], s[6:7], s2, v3, v[0:1]
	v_cmp_gt_i64_e32 vcc, s[12:13], v[0:1]
	s_and_saveexec_b64 s[6:7], vcc
	s_cbranch_execz .LBB1_11
; %bb.1:
	s_load_dwordx2 s[6:7], s[4:5], 0x30
	s_load_dwordx4 s[16:19], s[4:5], 0x20
	s_load_dwordx4 s[8:11], s[4:5], 0x0
	s_load_dword s3, s[0:1], 0x0
	s_waitcnt lgkmcnt(0)
	s_mul_i32 s0, s6, s19
	s_mul_hi_u32 s1, s6, s18
	s_add_i32 s0, s1, s0
	s_mul_i32 s1, s7, s18
	s_add_i32 s22, s0, s1
	s_sub_u32 s4, s18, s16
	s_subb_u32 s5, s19, s17
	s_mul_i32 s0, s4, s7
	s_mul_hi_u32 s1, s4, s6
	s_mul_i32 s14, s6, s17
	s_mul_hi_u32 s15, s6, s16
	s_add_i32 s0, s1, s0
	s_mul_i32 s1, s5, s6
	s_add_i32 s14, s15, s14
	s_mul_i32 s15, s7, s16
	;; [unrolled: 2-line block ×3, first 2 shown]
	s_add_i32 s24, s14, s15
	s_sub_u32 s27, 0, s1
	s_mul_i32 s23, s6, s18
	s_mul_i32 s25, s6, s16
	;; [unrolled: 1-line block ×3, first 2 shown]
	s_mov_b64 s[14:15], 0
	s_subb_u32 s28, 0, s0
	s_ashr_i32 s16, s22, 31
	s_branch .LBB1_3
.LBB1_2:                                ;   in Loop: Header=BB1_3 Depth=1
	s_or_b64 exec, exec, s[0:1]
	v_cmp_gt_i64_e32 vcc, s[4:5], v[6:7]
	v_mov_b32_e32 v3, s28
	v_mov_b32_e32 v4, s24
	v_cndmask_b32_e32 v3, v3, v4, vcc
	v_mov_b32_e32 v4, s27
	v_mov_b32_e32 v5, s25
	v_cndmask_b32_e32 v4, v4, v5, vcc
	v_add_co_u32_e32 v4, vcc, v4, v0
	v_addc_co_u32_e32 v5, vcc, v3, v1, vcc
	v_mov_b32_e32 v6, s9
	v_add_co_u32_e32 v3, vcc, s8, v4
	v_addc_co_u32_e32 v4, vcc, v6, v5, vcc
	global_load_ubyte v5, v[3:4], off
	v_mov_b32_e32 v4, s11
	v_add_co_u32_e32 v3, vcc, s10, v0
	v_addc_co_u32_e32 v4, vcc, v4, v1, vcc
	v_add_co_u32_e32 v0, vcc, s26, v0
	v_addc_co_u32_e32 v1, vcc, 0, v1, vcc
	v_cmp_le_i64_e32 vcc, s[12:13], v[0:1]
	s_or_b64 s[14:15], vcc, s[14:15]
	s_waitcnt vmcnt(0)
	global_store_byte v[3:4], v5, off
	s_andn2_b64 exec, exec, s[14:15]
	s_cbranch_execz .LBB1_11
.LBB1_3:                                ; =>This Inner Loop Header: Depth=1
	v_or_b32_e32 v3, s22, v1
	v_cmp_ne_u64_e32 vcc, 0, v[2:3]
                                        ; implicit-def: $vgpr4_vgpr5
	s_and_saveexec_b64 s[0:1], vcc
	s_xor_b64 s[18:19], exec, s[0:1]
	s_cbranch_execz .LBB1_5
; %bb.4:                                ;   in Loop: Header=BB1_3 Depth=1
	s_add_u32 s0, s23, s16
	s_mov_b32 s17, s16
	s_addc_u32 s1, s22, s16
	s_xor_b64 s[20:21], s[0:1], s[16:17]
	v_cvt_f32_u32_e32 v3, s20
	v_cvt_f32_u32_e32 v4, s21
	s_sub_u32 s2, 0, s20
	s_subb_u32 s3, 0, s21
	v_ashrrev_i32_e32 v7, 31, v1
	v_mac_f32_e32 v3, 0x4f800000, v4
	v_rcp_f32_e32 v3, v3
	v_mul_f32_e32 v3, 0x5f7ffffc, v3
	v_mul_f32_e32 v4, 0x2f800000, v3
	v_trunc_f32_e32 v4, v4
	v_mac_f32_e32 v3, 0xcf800000, v4
	v_cvt_u32_f32_e32 v4, v4
	v_cvt_u32_f32_e32 v3, v3
	v_readfirstlane_b32 s17, v4
	v_readfirstlane_b32 s0, v3
	s_mul_i32 s1, s2, s17
	s_mul_hi_u32 s30, s2, s0
	s_mul_i32 s29, s3, s0
	s_add_i32 s1, s30, s1
	s_add_i32 s1, s1, s29
	s_mul_i32 s31, s2, s0
	s_mul_i32 s30, s0, s1
	s_mul_hi_u32 s33, s0, s31
	s_mul_hi_u32 s29, s0, s1
	s_add_u32 s30, s33, s30
	s_addc_u32 s29, 0, s29
	s_mul_hi_u32 s34, s17, s31
	s_mul_i32 s31, s17, s31
	s_add_u32 s30, s30, s31
	s_mul_hi_u32 s33, s17, s1
	s_addc_u32 s29, s29, s34
	s_addc_u32 s30, s33, 0
	s_mul_i32 s1, s17, s1
	s_add_u32 s1, s29, s1
	s_addc_u32 s29, 0, s30
	s_add_u32 s30, s0, s1
	s_cselect_b64 s[0:1], -1, 0
	s_cmp_lg_u64 s[0:1], 0
	s_addc_u32 s17, s17, s29
	s_mul_i32 s0, s2, s17
	s_mul_hi_u32 s1, s2, s30
	s_add_i32 s0, s1, s0
	s_mul_i32 s3, s3, s30
	s_add_i32 s0, s0, s3
	s_mul_i32 s2, s2, s30
	s_mul_hi_u32 s3, s17, s2
	s_mul_i32 s29, s17, s2
	s_mul_i32 s33, s30, s0
	s_mul_hi_u32 s2, s30, s2
	s_mul_hi_u32 s31, s30, s0
	s_add_u32 s2, s2, s33
	s_addc_u32 s31, 0, s31
	s_add_u32 s2, s2, s29
	s_mul_hi_u32 s1, s17, s0
	s_addc_u32 s2, s31, s3
	s_addc_u32 s1, s1, 0
	s_mul_i32 s0, s17, s0
	s_add_u32 s0, s2, s0
	s_addc_u32 s2, 0, s1
	s_add_u32 s3, s30, s0
	s_cselect_b64 s[0:1], -1, 0
	s_cmp_lg_u64 s[0:1], 0
	v_add_co_u32_e32 v3, vcc, v0, v7
	s_addc_u32 s2, s17, s2
	v_xor_b32_e32 v8, v3, v7
	v_mad_u64_u32 v[3:4], s[0:1], v8, s2, 0
	v_mul_hi_u32 v6, v8, s3
	v_addc_co_u32_e32 v5, vcc, v1, v7, vcc
	v_xor_b32_e32 v9, v5, v7
	v_add_co_u32_e32 v10, vcc, v6, v3
	v_addc_co_u32_e32 v11, vcc, 0, v4, vcc
	v_mad_u64_u32 v[3:4], s[0:1], v9, s3, 0
	v_mad_u64_u32 v[5:6], s[0:1], v9, s2, 0
	v_add_co_u32_e32 v3, vcc, v10, v3
	v_addc_co_u32_e32 v3, vcc, v11, v4, vcc
	v_addc_co_u32_e32 v4, vcc, 0, v6, vcc
	v_add_co_u32_e32 v3, vcc, v3, v5
	v_addc_co_u32_e32 v4, vcc, 0, v4, vcc
	v_mul_lo_u32 v5, s21, v3
	v_mul_lo_u32 v6, s20, v4
	v_mad_u64_u32 v[3:4], s[0:1], s20, v3, 0
	v_add3_u32 v4, v4, v6, v5
	v_sub_u32_e32 v5, v9, v4
	v_mov_b32_e32 v6, s21
	v_sub_co_u32_e32 v3, vcc, v8, v3
	v_subb_co_u32_e64 v5, s[0:1], v5, v6, vcc
	v_subrev_co_u32_e64 v8, s[0:1], s20, v3
	v_subbrev_co_u32_e64 v10, s[2:3], 0, v5, s[0:1]
	v_cmp_le_u32_e64 s[2:3], s21, v10
	v_cndmask_b32_e64 v11, 0, -1, s[2:3]
	v_cmp_le_u32_e64 s[2:3], s20, v8
	v_subb_co_u32_e64 v5, s[0:1], v5, v6, s[0:1]
	v_cndmask_b32_e64 v12, 0, -1, s[2:3]
	v_cmp_eq_u32_e64 s[2:3], s21, v10
	v_subrev_co_u32_e64 v6, s[0:1], s20, v8
	v_subb_co_u32_e32 v4, vcc, v9, v4, vcc
	v_cndmask_b32_e64 v11, v11, v12, s[2:3]
	v_subbrev_co_u32_e64 v5, s[0:1], 0, v5, s[0:1]
	v_cmp_le_u32_e32 vcc, s21, v4
	v_cmp_ne_u32_e64 s[0:1], 0, v11
	v_cndmask_b32_e64 v9, 0, -1, vcc
	v_cmp_le_u32_e32 vcc, s20, v3
	v_cndmask_b32_e64 v5, v10, v5, s[0:1]
	v_cndmask_b32_e64 v10, 0, -1, vcc
	v_cmp_eq_u32_e32 vcc, s21, v4
	v_cndmask_b32_e32 v9, v9, v10, vcc
	v_cmp_ne_u32_e32 vcc, 0, v9
	v_cndmask_b32_e32 v4, v4, v5, vcc
	v_cndmask_b32_e64 v5, v8, v6, s[0:1]
	v_cndmask_b32_e32 v3, v3, v5, vcc
	v_xor_b32_e32 v3, v3, v7
	v_xor_b32_e32 v5, v4, v7
	v_sub_co_u32_e32 v4, vcc, v3, v7
	v_subb_co_u32_e32 v5, vcc, v5, v7, vcc
.LBB1_5:                                ;   in Loop: Header=BB1_3 Depth=1
	s_andn2_saveexec_b64 s[0:1], s[18:19]
	s_cbranch_execz .LBB1_7
; %bb.6:                                ;   in Loop: Header=BB1_3 Depth=1
	v_cvt_f32_u32_e32 v3, s23
	s_sub_i32 s2, 0, s23
	v_mov_b32_e32 v5, v2
	v_rcp_iflag_f32_e32 v3, v3
	v_mul_f32_e32 v3, 0x4f7ffffe, v3
	v_cvt_u32_f32_e32 v3, v3
	v_mul_lo_u32 v4, s2, v3
	v_mul_hi_u32 v4, v3, v4
	v_add_u32_e32 v3, v3, v4
	v_mul_hi_u32 v3, v0, v3
	v_mul_lo_u32 v3, v3, s23
	v_sub_u32_e32 v3, v0, v3
	v_subrev_u32_e32 v4, s23, v3
	v_cmp_le_u32_e32 vcc, s23, v3
	v_cndmask_b32_e32 v3, v3, v4, vcc
	v_subrev_u32_e32 v4, s23, v3
	v_cmp_le_u32_e32 vcc, s23, v3
	v_cndmask_b32_e32 v4, v3, v4, vcc
.LBB1_7:                                ;   in Loop: Header=BB1_3 Depth=1
	s_or_b64 exec, exec, s[0:1]
	v_or_b32_e32 v3, s7, v5
	v_cmp_ne_u64_e32 vcc, 0, v[2:3]
                                        ; implicit-def: $vgpr6_vgpr7
	s_and_saveexec_b64 s[0:1], vcc
	s_xor_b64 s[2:3], exec, s[0:1]
	s_cbranch_execz .LBB1_9
; %bb.8:                                ;   in Loop: Header=BB1_3 Depth=1
	s_ashr_i32 s18, s7, 31
	s_add_u32 s0, s6, s18
	s_mov_b32 s19, s18
	s_addc_u32 s1, s7, s18
	s_xor_b64 s[20:21], s[0:1], s[18:19]
	v_cvt_f32_u32_e32 v3, s20
	v_cvt_f32_u32_e32 v6, s21
	s_sub_u32 s17, 0, s20
	s_subb_u32 s19, 0, s21
	v_ashrrev_i32_e32 v7, 31, v5
	v_mac_f32_e32 v3, 0x4f800000, v6
	v_rcp_f32_e32 v3, v3
	v_mul_f32_e32 v3, 0x5f7ffffc, v3
	v_mul_f32_e32 v6, 0x2f800000, v3
	v_trunc_f32_e32 v6, v6
	v_mac_f32_e32 v3, 0xcf800000, v6
	v_cvt_u32_f32_e32 v6, v6
	v_cvt_u32_f32_e32 v3, v3
	v_readfirstlane_b32 s29, v6
	v_readfirstlane_b32 s0, v3
	s_mul_i32 s1, s17, s29
	s_mul_hi_u32 s31, s17, s0
	s_mul_i32 s30, s19, s0
	s_add_i32 s1, s31, s1
	s_add_i32 s1, s1, s30
	s_mul_i32 s33, s17, s0
	s_mul_i32 s31, s0, s1
	s_mul_hi_u32 s34, s0, s33
	s_mul_hi_u32 s30, s0, s1
	s_add_u32 s31, s34, s31
	s_addc_u32 s30, 0, s30
	s_mul_hi_u32 s35, s29, s33
	s_mul_i32 s33, s29, s33
	s_add_u32 s31, s31, s33
	s_mul_hi_u32 s34, s29, s1
	s_addc_u32 s30, s30, s35
	s_addc_u32 s31, s34, 0
	s_mul_i32 s1, s29, s1
	s_add_u32 s1, s30, s1
	s_addc_u32 s30, 0, s31
	s_add_u32 s31, s0, s1
	s_cselect_b64 s[0:1], -1, 0
	s_cmp_lg_u64 s[0:1], 0
	s_addc_u32 s29, s29, s30
	s_mul_i32 s0, s17, s29
	s_mul_hi_u32 s1, s17, s31
	s_add_i32 s0, s1, s0
	s_mul_i32 s19, s19, s31
	s_add_i32 s0, s0, s19
	s_mul_i32 s17, s17, s31
	s_mul_hi_u32 s19, s29, s17
	s_mul_i32 s30, s29, s17
	s_mul_i32 s34, s31, s0
	s_mul_hi_u32 s17, s31, s17
	s_mul_hi_u32 s33, s31, s0
	s_add_u32 s17, s17, s34
	s_addc_u32 s33, 0, s33
	s_add_u32 s17, s17, s30
	s_mul_hi_u32 s1, s29, s0
	s_addc_u32 s17, s33, s19
	s_addc_u32 s1, s1, 0
	s_mul_i32 s0, s29, s0
	s_add_u32 s0, s17, s0
	s_addc_u32 s17, 0, s1
	s_add_u32 s19, s31, s0
	s_cselect_b64 s[0:1], -1, 0
	s_cmp_lg_u64 s[0:1], 0
	v_add_co_u32_e32 v3, vcc, v4, v7
	s_addc_u32 s17, s29, s17
	v_xor_b32_e32 v8, v3, v7
	v_mad_u64_u32 v[3:4], s[0:1], v8, s17, 0
	v_mul_hi_u32 v6, v8, s19
	v_addc_co_u32_e32 v5, vcc, v5, v7, vcc
	v_xor_b32_e32 v9, v5, v7
	v_add_co_u32_e32 v10, vcc, v6, v3
	v_addc_co_u32_e32 v11, vcc, 0, v4, vcc
	v_mad_u64_u32 v[3:4], s[0:1], v9, s19, 0
	v_mad_u64_u32 v[5:6], s[0:1], v9, s17, 0
	v_add_co_u32_e32 v3, vcc, v10, v3
	v_addc_co_u32_e32 v3, vcc, v11, v4, vcc
	v_addc_co_u32_e32 v4, vcc, 0, v6, vcc
	v_add_co_u32_e32 v5, vcc, v3, v5
	v_addc_co_u32_e32 v6, vcc, 0, v4, vcc
	v_mul_lo_u32 v10, s21, v5
	v_mul_lo_u32 v11, s20, v6
	v_mad_u64_u32 v[3:4], s[0:1], s20, v5, 0
	v_add3_u32 v4, v4, v11, v10
	v_sub_u32_e32 v10, v9, v4
	v_mov_b32_e32 v11, s21
	v_sub_co_u32_e32 v3, vcc, v8, v3
	v_subb_co_u32_e64 v8, s[0:1], v10, v11, vcc
	v_subrev_co_u32_e64 v10, s[0:1], s20, v3
	v_subbrev_co_u32_e64 v8, s[0:1], 0, v8, s[0:1]
	v_cmp_le_u32_e64 s[0:1], s21, v8
	v_cndmask_b32_e64 v11, 0, -1, s[0:1]
	v_cmp_le_u32_e64 s[0:1], s20, v10
	v_cndmask_b32_e64 v10, 0, -1, s[0:1]
	v_cmp_eq_u32_e64 s[0:1], s21, v8
	v_cndmask_b32_e64 v8, v11, v10, s[0:1]
	v_add_co_u32_e64 v10, s[0:1], 2, v5
	v_subb_co_u32_e32 v4, vcc, v9, v4, vcc
	v_addc_co_u32_e64 v11, s[0:1], 0, v6, s[0:1]
	v_cmp_le_u32_e32 vcc, s21, v4
	v_add_co_u32_e64 v12, s[0:1], 1, v5
	v_cndmask_b32_e64 v9, 0, -1, vcc
	v_cmp_le_u32_e32 vcc, s20, v3
	v_addc_co_u32_e64 v13, s[0:1], 0, v6, s[0:1]
	v_cndmask_b32_e64 v3, 0, -1, vcc
	v_cmp_eq_u32_e32 vcc, s21, v4
	v_cmp_ne_u32_e64 s[0:1], 0, v8
	v_cndmask_b32_e32 v3, v9, v3, vcc
	v_cmp_ne_u32_e32 vcc, 0, v3
	v_cndmask_b32_e64 v4, v12, v10, s[0:1]
	v_cndmask_b32_e64 v8, v13, v11, s[0:1]
	v_cndmask_b32_e32 v4, v5, v4, vcc
	v_xor_b32_e32 v5, s18, v7
	v_cndmask_b32_e32 v3, v6, v8, vcc
	v_xor_b32_e32 v4, v4, v5
	v_xor_b32_e32 v3, v3, v5
	v_sub_co_u32_e32 v6, vcc, v4, v5
	v_subb_co_u32_e32 v7, vcc, v3, v5, vcc
                                        ; implicit-def: $vgpr4_vgpr5
.LBB1_9:                                ;   in Loop: Header=BB1_3 Depth=1
	s_andn2_saveexec_b64 s[0:1], s[2:3]
	s_cbranch_execz .LBB1_2
; %bb.10:                               ;   in Loop: Header=BB1_3 Depth=1
	v_cvt_f32_u32_e32 v3, s6
	s_sub_i32 s2, 0, s6
	v_mov_b32_e32 v7, v2
	v_rcp_iflag_f32_e32 v3, v3
	v_mul_f32_e32 v3, 0x4f7ffffe, v3
	v_cvt_u32_f32_e32 v3, v3
	v_mul_lo_u32 v5, s2, v3
	v_mul_hi_u32 v5, v3, v5
	v_add_u32_e32 v3, v3, v5
	v_mul_hi_u32 v3, v4, v3
	v_mul_lo_u32 v5, v3, s6
	v_add_u32_e32 v6, 1, v3
	v_sub_u32_e32 v4, v4, v5
	v_subrev_u32_e32 v5, s6, v4
	v_cmp_le_u32_e32 vcc, s6, v4
	v_cndmask_b32_e32 v4, v4, v5, vcc
	v_cndmask_b32_e32 v3, v3, v6, vcc
	v_add_u32_e32 v5, 1, v3
	v_cmp_le_u32_e32 vcc, s6, v4
	v_cndmask_b32_e32 v6, v3, v5, vcc
	s_branch .LBB1_2
.LBB1_11:
	s_endpgm
	.section	.rodata,"a",@progbits
	.p2align	6, 0x0
	.amdhsa_kernel _ZN2at6native16roll_cuda_kernelIaEEvPKT_PS2_llllll
		.amdhsa_group_segment_fixed_size 0
		.amdhsa_private_segment_fixed_size 0
		.amdhsa_kernarg_size 320
		.amdhsa_user_sgpr_count 6
		.amdhsa_user_sgpr_private_segment_buffer 1
		.amdhsa_user_sgpr_dispatch_ptr 0
		.amdhsa_user_sgpr_queue_ptr 0
		.amdhsa_user_sgpr_kernarg_segment_ptr 1
		.amdhsa_user_sgpr_dispatch_id 0
		.amdhsa_user_sgpr_flat_scratch_init 0
		.amdhsa_user_sgpr_private_segment_size 0
		.amdhsa_uses_dynamic_stack 0
		.amdhsa_system_sgpr_private_segment_wavefront_offset 0
		.amdhsa_system_sgpr_workgroup_id_x 1
		.amdhsa_system_sgpr_workgroup_id_y 0
		.amdhsa_system_sgpr_workgroup_id_z 0
		.amdhsa_system_sgpr_workgroup_info 0
		.amdhsa_system_vgpr_workitem_id 0
		.amdhsa_next_free_vgpr 14
		.amdhsa_next_free_sgpr 36
		.amdhsa_reserve_vcc 1
		.amdhsa_reserve_flat_scratch 0
		.amdhsa_float_round_mode_32 0
		.amdhsa_float_round_mode_16_64 0
		.amdhsa_float_denorm_mode_32 3
		.amdhsa_float_denorm_mode_16_64 3
		.amdhsa_dx10_clamp 1
		.amdhsa_ieee_mode 1
		.amdhsa_fp16_overflow 0
		.amdhsa_exception_fp_ieee_invalid_op 0
		.amdhsa_exception_fp_denorm_src 0
		.amdhsa_exception_fp_ieee_div_zero 0
		.amdhsa_exception_fp_ieee_overflow 0
		.amdhsa_exception_fp_ieee_underflow 0
		.amdhsa_exception_fp_ieee_inexact 0
		.amdhsa_exception_int_div_zero 0
	.end_amdhsa_kernel
	.section	.text._ZN2at6native16roll_cuda_kernelIaEEvPKT_PS2_llllll,"axG",@progbits,_ZN2at6native16roll_cuda_kernelIaEEvPKT_PS2_llllll,comdat
.Lfunc_end1:
	.size	_ZN2at6native16roll_cuda_kernelIaEEvPKT_PS2_llllll, .Lfunc_end1-_ZN2at6native16roll_cuda_kernelIaEEvPKT_PS2_llllll
                                        ; -- End function
	.set _ZN2at6native16roll_cuda_kernelIaEEvPKT_PS2_llllll.num_vgpr, 14
	.set _ZN2at6native16roll_cuda_kernelIaEEvPKT_PS2_llllll.num_agpr, 0
	.set _ZN2at6native16roll_cuda_kernelIaEEvPKT_PS2_llllll.numbered_sgpr, 36
	.set _ZN2at6native16roll_cuda_kernelIaEEvPKT_PS2_llllll.num_named_barrier, 0
	.set _ZN2at6native16roll_cuda_kernelIaEEvPKT_PS2_llllll.private_seg_size, 0
	.set _ZN2at6native16roll_cuda_kernelIaEEvPKT_PS2_llllll.uses_vcc, 1
	.set _ZN2at6native16roll_cuda_kernelIaEEvPKT_PS2_llllll.uses_flat_scratch, 0
	.set _ZN2at6native16roll_cuda_kernelIaEEvPKT_PS2_llllll.has_dyn_sized_stack, 0
	.set _ZN2at6native16roll_cuda_kernelIaEEvPKT_PS2_llllll.has_recursion, 0
	.set _ZN2at6native16roll_cuda_kernelIaEEvPKT_PS2_llllll.has_indirect_call, 0
	.section	.AMDGPU.csdata,"",@progbits
; Kernel info:
; codeLenInByte = 1768
; TotalNumSgprs: 40
; NumVgprs: 14
; ScratchSize: 0
; MemoryBound: 0
; FloatMode: 240
; IeeeMode: 1
; LDSByteSize: 0 bytes/workgroup (compile time only)
; SGPRBlocks: 4
; VGPRBlocks: 3
; NumSGPRsForWavesPerEU: 40
; NumVGPRsForWavesPerEU: 14
; Occupancy: 10
; WaveLimiterHint : 0
; COMPUTE_PGM_RSRC2:SCRATCH_EN: 0
; COMPUTE_PGM_RSRC2:USER_SGPR: 6
; COMPUTE_PGM_RSRC2:TRAP_HANDLER: 0
; COMPUTE_PGM_RSRC2:TGID_X_EN: 1
; COMPUTE_PGM_RSRC2:TGID_Y_EN: 0
; COMPUTE_PGM_RSRC2:TGID_Z_EN: 0
; COMPUTE_PGM_RSRC2:TIDIG_COMP_CNT: 0
	.section	.text._ZN2at6native16roll_cuda_kernelIiEEvPKT_PS2_llllll,"axG",@progbits,_ZN2at6native16roll_cuda_kernelIiEEvPKT_PS2_llllll,comdat
	.protected	_ZN2at6native16roll_cuda_kernelIiEEvPKT_PS2_llllll ; -- Begin function _ZN2at6native16roll_cuda_kernelIiEEvPKT_PS2_llllll
	.globl	_ZN2at6native16roll_cuda_kernelIiEEvPKT_PS2_llllll
	.p2align	8
	.type	_ZN2at6native16roll_cuda_kernelIiEEvPKT_PS2_llllll,@function
_ZN2at6native16roll_cuda_kernelIiEEvPKT_PS2_llllll: ; @_ZN2at6native16roll_cuda_kernelIiEEvPKT_PS2_llllll
; %bb.0:
	s_load_dword s2, s[4:5], 0x4c
	s_load_dwordx2 s[12:13], s[4:5], 0x10
	s_add_u32 s0, s4, 64
	v_mov_b32_e32 v2, 0
	s_addc_u32 s1, s5, 0
	s_waitcnt lgkmcnt(0)
	s_and_b32 s2, s2, 0xffff
	v_mov_b32_e32 v1, v2
	v_mov_b32_e32 v3, s6
	v_mad_u64_u32 v[0:1], s[6:7], s2, v3, v[0:1]
	v_cmp_gt_i64_e32 vcc, s[12:13], v[0:1]
	s_and_saveexec_b64 s[6:7], vcc
	s_cbranch_execz .LBB2_11
; %bb.1:
	s_load_dwordx2 s[6:7], s[4:5], 0x30
	s_load_dwordx4 s[16:19], s[4:5], 0x20
	s_load_dwordx4 s[8:11], s[4:5], 0x0
	s_load_dword s3, s[0:1], 0x0
	v_lshlrev_b64 v[4:5], 2, v[0:1]
	s_waitcnt lgkmcnt(0)
	s_mul_i32 s0, s6, s19
	s_mul_hi_u32 s1, s6, s18
	s_add_i32 s0, s1, s0
	s_mul_i32 s1, s7, s18
	s_add_i32 s26, s0, s1
	s_sub_u32 s4, s18, s16
	s_subb_u32 s5, s19, s17
	s_mul_i32 s0, s4, s7
	s_mul_hi_u32 s1, s4, s6
	s_mul_i32 s14, s6, s17
	s_mul_hi_u32 s15, s6, s16
	s_add_i32 s0, s1, s0
	s_mul_i32 s1, s5, s6
	s_add_i32 s14, s15, s14
	s_mul_i32 s15, s7, s16
	;; [unrolled: 2-line block ×4, first 2 shown]
	s_mov_b32 s15, 0
	s_sub_u32 s30, 0, s1
	s_mul_i32 s27, s6, s18
	s_mul_i32 s29, s6, s16
	s_mov_b64 s[16:17], 0
	s_subb_u32 s31, 0, s0
	s_lshl_b64 s[18:19], s[14:15], 2
	s_ashr_i32 s20, s26, 31
	s_branch .LBB2_3
.LBB2_2:                                ;   in Loop: Header=BB2_3 Depth=1
	s_or_b64 exec, exec, s[0:1]
	v_cmp_gt_i64_e32 vcc, s[4:5], v[8:9]
	v_mov_b32_e32 v3, s31
	v_mov_b32_e32 v6, s28
	v_cndmask_b32_e32 v7, v3, v6, vcc
	v_mov_b32_e32 v3, s30
	v_mov_b32_e32 v6, s29
	v_cndmask_b32_e32 v6, v3, v6, vcc
	v_lshlrev_b64 v[6:7], 2, v[6:7]
	v_mov_b32_e32 v8, s9
	v_add_co_u32_e32 v3, vcc, v4, v6
	v_addc_co_u32_e32 v7, vcc, v5, v7, vcc
	v_add_co_u32_e32 v6, vcc, s8, v3
	v_addc_co_u32_e32 v7, vcc, v8, v7, vcc
	global_load_dword v3, v[6:7], off
	v_add_co_u32_e32 v0, vcc, s14, v0
	v_addc_co_u32_e32 v1, vcc, 0, v1, vcc
	v_cmp_le_i64_e32 vcc, s[12:13], v[0:1]
	v_mov_b32_e32 v7, s11
	v_mov_b32_e32 v8, s19
	v_add_co_u32_e64 v6, s[0:1], s10, v4
	s_or_b64 s[16:17], vcc, s[16:17]
	v_add_co_u32_e32 v4, vcc, s18, v4
	v_addc_co_u32_e64 v7, s[0:1], v7, v5, s[0:1]
	v_addc_co_u32_e32 v5, vcc, v5, v8, vcc
	s_waitcnt vmcnt(0)
	global_store_dword v[6:7], v3, off
	s_andn2_b64 exec, exec, s[16:17]
	s_cbranch_execz .LBB2_11
.LBB2_3:                                ; =>This Inner Loop Header: Depth=1
	v_or_b32_e32 v3, s26, v1
	v_cmp_ne_u64_e32 vcc, 0, v[2:3]
                                        ; implicit-def: $vgpr6_vgpr7
	s_and_saveexec_b64 s[0:1], vcc
	s_xor_b64 s[22:23], exec, s[0:1]
	s_cbranch_execz .LBB2_5
; %bb.4:                                ;   in Loop: Header=BB2_3 Depth=1
	s_add_u32 s0, s27, s20
	s_mov_b32 s21, s20
	s_addc_u32 s1, s26, s20
	s_xor_b64 s[24:25], s[0:1], s[20:21]
	v_cvt_f32_u32_e32 v3, s24
	v_cvt_f32_u32_e32 v6, s25
	s_sub_u32 s2, 0, s24
	s_subb_u32 s3, 0, s25
	v_mac_f32_e32 v3, 0x4f800000, v6
	v_rcp_f32_e32 v3, v3
	v_mul_f32_e32 v3, 0x5f7ffffc, v3
	v_mul_f32_e32 v6, 0x2f800000, v3
	v_trunc_f32_e32 v6, v6
	v_mac_f32_e32 v3, 0xcf800000, v6
	v_cvt_u32_f32_e32 v6, v6
	v_cvt_u32_f32_e32 v3, v3
	v_readfirstlane_b32 s15, v6
	v_readfirstlane_b32 s0, v3
	s_mul_i32 s1, s2, s15
	s_mul_hi_u32 s33, s2, s0
	s_mul_i32 s21, s3, s0
	s_add_i32 s1, s33, s1
	s_add_i32 s1, s1, s21
	s_mul_i32 s34, s2, s0
	s_mul_i32 s33, s0, s1
	s_mul_hi_u32 s35, s0, s34
	s_mul_hi_u32 s21, s0, s1
	s_add_u32 s33, s35, s33
	s_addc_u32 s21, 0, s21
	s_mul_hi_u32 s36, s15, s34
	s_mul_i32 s34, s15, s34
	s_add_u32 s33, s33, s34
	s_mul_hi_u32 s35, s15, s1
	s_addc_u32 s21, s21, s36
	s_addc_u32 s33, s35, 0
	s_mul_i32 s1, s15, s1
	s_add_u32 s1, s21, s1
	s_addc_u32 s21, 0, s33
	s_add_u32 s33, s0, s1
	s_cselect_b64 s[0:1], -1, 0
	s_cmp_lg_u64 s[0:1], 0
	s_addc_u32 s15, s15, s21
	s_mul_i32 s0, s2, s15
	s_mul_hi_u32 s1, s2, s33
	s_add_i32 s0, s1, s0
	s_mul_i32 s3, s3, s33
	s_add_i32 s0, s0, s3
	s_mul_i32 s2, s2, s33
	s_mul_hi_u32 s3, s15, s2
	s_mul_i32 s21, s15, s2
	s_mul_i32 s35, s33, s0
	s_mul_hi_u32 s2, s33, s2
	s_mul_hi_u32 s34, s33, s0
	s_add_u32 s2, s2, s35
	s_addc_u32 s34, 0, s34
	s_add_u32 s2, s2, s21
	s_mul_hi_u32 s1, s15, s0
	s_addc_u32 s2, s34, s3
	s_addc_u32 s1, s1, 0
	s_mul_i32 s0, s15, s0
	s_add_u32 s0, s2, s0
	s_addc_u32 s2, 0, s1
	s_add_u32 s3, s33, s0
	s_cselect_b64 s[0:1], -1, 0
	v_ashrrev_i32_e32 v3, 31, v1
	s_cmp_lg_u64 s[0:1], 0
	v_add_co_u32_e32 v6, vcc, v0, v3
	s_addc_u32 s2, s15, s2
	v_xor_b32_e32 v10, v6, v3
	v_mad_u64_u32 v[6:7], s[0:1], v10, s2, 0
	v_mul_hi_u32 v9, v10, s3
	v_addc_co_u32_e32 v8, vcc, v1, v3, vcc
	v_xor_b32_e32 v11, v8, v3
	v_add_co_u32_e32 v12, vcc, v9, v6
	v_addc_co_u32_e32 v13, vcc, 0, v7, vcc
	v_mad_u64_u32 v[6:7], s[0:1], v11, s3, 0
	v_mad_u64_u32 v[8:9], s[0:1], v11, s2, 0
	v_add_co_u32_e32 v6, vcc, v12, v6
	v_addc_co_u32_e32 v6, vcc, v13, v7, vcc
	v_addc_co_u32_e32 v7, vcc, 0, v9, vcc
	v_add_co_u32_e32 v6, vcc, v6, v8
	v_addc_co_u32_e32 v7, vcc, 0, v7, vcc
	v_mul_lo_u32 v8, s25, v6
	v_mul_lo_u32 v9, s24, v7
	v_mad_u64_u32 v[6:7], s[0:1], s24, v6, 0
	v_add3_u32 v7, v7, v9, v8
	v_sub_u32_e32 v8, v11, v7
	v_mov_b32_e32 v9, s25
	v_sub_co_u32_e32 v6, vcc, v10, v6
	v_subb_co_u32_e64 v8, s[0:1], v8, v9, vcc
	v_subrev_co_u32_e64 v10, s[0:1], s24, v6
	v_subbrev_co_u32_e64 v12, s[2:3], 0, v8, s[0:1]
	v_cmp_le_u32_e64 s[2:3], s25, v12
	v_cndmask_b32_e64 v13, 0, -1, s[2:3]
	v_cmp_le_u32_e64 s[2:3], s24, v10
	v_subb_co_u32_e64 v8, s[0:1], v8, v9, s[0:1]
	v_cndmask_b32_e64 v14, 0, -1, s[2:3]
	v_cmp_eq_u32_e64 s[2:3], s25, v12
	v_subrev_co_u32_e64 v9, s[0:1], s24, v10
	v_subb_co_u32_e32 v7, vcc, v11, v7, vcc
	v_cndmask_b32_e64 v13, v13, v14, s[2:3]
	v_subbrev_co_u32_e64 v8, s[0:1], 0, v8, s[0:1]
	v_cmp_le_u32_e32 vcc, s25, v7
	v_cmp_ne_u32_e64 s[0:1], 0, v13
	v_cndmask_b32_e64 v11, 0, -1, vcc
	v_cmp_le_u32_e32 vcc, s24, v6
	v_cndmask_b32_e64 v8, v12, v8, s[0:1]
	v_cndmask_b32_e64 v12, 0, -1, vcc
	v_cmp_eq_u32_e32 vcc, s25, v7
	v_cndmask_b32_e32 v11, v11, v12, vcc
	v_cmp_ne_u32_e32 vcc, 0, v11
	v_cndmask_b32_e32 v7, v7, v8, vcc
	v_cndmask_b32_e64 v8, v10, v9, s[0:1]
	v_cndmask_b32_e32 v6, v6, v8, vcc
	v_xor_b32_e32 v6, v6, v3
	v_xor_b32_e32 v7, v7, v3
	v_sub_co_u32_e32 v6, vcc, v6, v3
	v_subb_co_u32_e32 v7, vcc, v7, v3, vcc
.LBB2_5:                                ;   in Loop: Header=BB2_3 Depth=1
	s_andn2_saveexec_b64 s[0:1], s[22:23]
	s_cbranch_execz .LBB2_7
; %bb.6:                                ;   in Loop: Header=BB2_3 Depth=1
	v_cvt_f32_u32_e32 v3, s27
	s_sub_i32 s2, 0, s27
	v_mov_b32_e32 v7, v2
	v_rcp_iflag_f32_e32 v3, v3
	v_mul_f32_e32 v3, 0x4f7ffffe, v3
	v_cvt_u32_f32_e32 v3, v3
	v_mul_lo_u32 v6, s2, v3
	v_mul_hi_u32 v6, v3, v6
	v_add_u32_e32 v3, v3, v6
	v_mul_hi_u32 v3, v0, v3
	v_mul_lo_u32 v3, v3, s27
	v_sub_u32_e32 v3, v0, v3
	v_subrev_u32_e32 v6, s27, v3
	v_cmp_le_u32_e32 vcc, s27, v3
	v_cndmask_b32_e32 v3, v3, v6, vcc
	v_subrev_u32_e32 v6, s27, v3
	v_cmp_le_u32_e32 vcc, s27, v3
	v_cndmask_b32_e32 v6, v3, v6, vcc
.LBB2_7:                                ;   in Loop: Header=BB2_3 Depth=1
	s_or_b64 exec, exec, s[0:1]
	v_or_b32_e32 v3, s7, v7
	v_cmp_ne_u64_e32 vcc, 0, v[2:3]
                                        ; implicit-def: $vgpr8_vgpr9
	s_and_saveexec_b64 s[0:1], vcc
	s_xor_b64 s[2:3], exec, s[0:1]
	s_cbranch_execz .LBB2_9
; %bb.8:                                ;   in Loop: Header=BB2_3 Depth=1
	s_ashr_i32 s22, s7, 31
	s_add_u32 s0, s6, s22
	s_mov_b32 s23, s22
	s_addc_u32 s1, s7, s22
	s_xor_b64 s[24:25], s[0:1], s[22:23]
	v_cvt_f32_u32_e32 v3, s24
	v_cvt_f32_u32_e32 v8, s25
	s_sub_u32 s15, 0, s24
	s_subb_u32 s21, 0, s25
	v_mac_f32_e32 v3, 0x4f800000, v8
	v_rcp_f32_e32 v3, v3
	v_mul_f32_e32 v3, 0x5f7ffffc, v3
	v_mul_f32_e32 v8, 0x2f800000, v3
	v_trunc_f32_e32 v8, v8
	v_mac_f32_e32 v3, 0xcf800000, v8
	v_cvt_u32_f32_e32 v8, v8
	v_cvt_u32_f32_e32 v3, v3
	v_readfirstlane_b32 s23, v8
	v_readfirstlane_b32 s0, v3
	s_mul_i32 s1, s15, s23
	s_mul_hi_u32 s34, s15, s0
	s_mul_i32 s33, s21, s0
	s_add_i32 s1, s34, s1
	s_add_i32 s1, s1, s33
	s_mul_i32 s35, s15, s0
	s_mul_i32 s34, s0, s1
	s_mul_hi_u32 s36, s0, s35
	s_mul_hi_u32 s33, s0, s1
	s_add_u32 s34, s36, s34
	s_addc_u32 s33, 0, s33
	s_mul_hi_u32 s37, s23, s35
	s_mul_i32 s35, s23, s35
	s_add_u32 s34, s34, s35
	s_mul_hi_u32 s36, s23, s1
	s_addc_u32 s33, s33, s37
	s_addc_u32 s34, s36, 0
	s_mul_i32 s1, s23, s1
	s_add_u32 s1, s33, s1
	s_addc_u32 s33, 0, s34
	s_add_u32 s34, s0, s1
	s_cselect_b64 s[0:1], -1, 0
	s_cmp_lg_u64 s[0:1], 0
	s_addc_u32 s23, s23, s33
	s_mul_i32 s0, s15, s23
	s_mul_hi_u32 s1, s15, s34
	s_add_i32 s0, s1, s0
	s_mul_i32 s21, s21, s34
	s_add_i32 s0, s0, s21
	s_mul_i32 s15, s15, s34
	s_mul_hi_u32 s21, s23, s15
	s_mul_i32 s33, s23, s15
	s_mul_i32 s36, s34, s0
	s_mul_hi_u32 s15, s34, s15
	s_mul_hi_u32 s35, s34, s0
	s_add_u32 s15, s15, s36
	s_addc_u32 s35, 0, s35
	s_add_u32 s15, s15, s33
	s_mul_hi_u32 s1, s23, s0
	s_addc_u32 s15, s35, s21
	s_addc_u32 s1, s1, 0
	s_mul_i32 s0, s23, s0
	s_add_u32 s0, s15, s0
	s_addc_u32 s15, 0, s1
	s_add_u32 s21, s34, s0
	s_cselect_b64 s[0:1], -1, 0
	v_ashrrev_i32_e32 v3, 31, v7
	s_cmp_lg_u64 s[0:1], 0
	v_add_co_u32_e32 v6, vcc, v6, v3
	s_addc_u32 s15, s23, s15
	v_xor_b32_e32 v10, v6, v3
	v_addc_co_u32_e32 v8, vcc, v7, v3, vcc
	v_mad_u64_u32 v[6:7], s[0:1], v10, s15, 0
	v_mul_hi_u32 v9, v10, s21
	v_xor_b32_e32 v11, v8, v3
	v_xor_b32_e32 v3, s22, v3
	v_add_co_u32_e32 v12, vcc, v9, v6
	v_addc_co_u32_e32 v13, vcc, 0, v7, vcc
	v_mad_u64_u32 v[6:7], s[0:1], v11, s21, 0
	v_mad_u64_u32 v[8:9], s[0:1], v11, s15, 0
	v_add_co_u32_e32 v6, vcc, v12, v6
	v_addc_co_u32_e32 v6, vcc, v13, v7, vcc
	v_addc_co_u32_e32 v7, vcc, 0, v9, vcc
	v_add_co_u32_e32 v8, vcc, v6, v8
	v_addc_co_u32_e32 v9, vcc, 0, v7, vcc
	v_mul_lo_u32 v12, s25, v8
	v_mul_lo_u32 v13, s24, v9
	v_mad_u64_u32 v[6:7], s[0:1], s24, v8, 0
	v_add3_u32 v7, v7, v13, v12
	v_sub_u32_e32 v12, v11, v7
	v_mov_b32_e32 v13, s25
	v_sub_co_u32_e32 v6, vcc, v10, v6
	v_subb_co_u32_e64 v10, s[0:1], v12, v13, vcc
	v_subrev_co_u32_e64 v12, s[0:1], s24, v6
	v_subbrev_co_u32_e64 v10, s[0:1], 0, v10, s[0:1]
	v_cmp_le_u32_e64 s[0:1], s25, v10
	v_cndmask_b32_e64 v13, 0, -1, s[0:1]
	v_cmp_le_u32_e64 s[0:1], s24, v12
	v_cndmask_b32_e64 v12, 0, -1, s[0:1]
	v_cmp_eq_u32_e64 s[0:1], s25, v10
	v_cndmask_b32_e64 v10, v13, v12, s[0:1]
	v_add_co_u32_e64 v12, s[0:1], 2, v8
	v_subb_co_u32_e32 v7, vcc, v11, v7, vcc
	v_addc_co_u32_e64 v13, s[0:1], 0, v9, s[0:1]
	v_cmp_le_u32_e32 vcc, s25, v7
	v_add_co_u32_e64 v14, s[0:1], 1, v8
	v_cndmask_b32_e64 v11, 0, -1, vcc
	v_cmp_le_u32_e32 vcc, s24, v6
	v_addc_co_u32_e64 v15, s[0:1], 0, v9, s[0:1]
	v_cndmask_b32_e64 v6, 0, -1, vcc
	v_cmp_eq_u32_e32 vcc, s25, v7
	v_cmp_ne_u32_e64 s[0:1], 0, v10
	v_cndmask_b32_e32 v6, v11, v6, vcc
	v_cmp_ne_u32_e32 vcc, 0, v6
	v_cndmask_b32_e64 v7, v14, v12, s[0:1]
	v_cndmask_b32_e64 v10, v15, v13, s[0:1]
	v_cndmask_b32_e32 v7, v8, v7, vcc
	v_cndmask_b32_e32 v6, v9, v10, vcc
	v_xor_b32_e32 v7, v7, v3
	v_xor_b32_e32 v6, v6, v3
	v_sub_co_u32_e32 v8, vcc, v7, v3
	v_subb_co_u32_e32 v9, vcc, v6, v3, vcc
                                        ; implicit-def: $vgpr6_vgpr7
.LBB2_9:                                ;   in Loop: Header=BB2_3 Depth=1
	s_andn2_saveexec_b64 s[0:1], s[2:3]
	s_cbranch_execz .LBB2_2
; %bb.10:                               ;   in Loop: Header=BB2_3 Depth=1
	v_cvt_f32_u32_e32 v3, s6
	s_sub_i32 s2, 0, s6
	v_mov_b32_e32 v9, v2
	v_rcp_iflag_f32_e32 v3, v3
	v_mul_f32_e32 v3, 0x4f7ffffe, v3
	v_cvt_u32_f32_e32 v3, v3
	v_mul_lo_u32 v7, s2, v3
	v_mul_hi_u32 v7, v3, v7
	v_add_u32_e32 v3, v3, v7
	v_mul_hi_u32 v3, v6, v3
	v_mul_lo_u32 v7, v3, s6
	v_add_u32_e32 v8, 1, v3
	v_sub_u32_e32 v6, v6, v7
	v_subrev_u32_e32 v7, s6, v6
	v_cmp_le_u32_e32 vcc, s6, v6
	v_cndmask_b32_e32 v6, v6, v7, vcc
	v_cndmask_b32_e32 v3, v3, v8, vcc
	v_add_u32_e32 v7, 1, v3
	v_cmp_le_u32_e32 vcc, s6, v6
	v_cndmask_b32_e32 v8, v3, v7, vcc
	s_branch .LBB2_2
.LBB2_11:
	s_endpgm
	.section	.rodata,"a",@progbits
	.p2align	6, 0x0
	.amdhsa_kernel _ZN2at6native16roll_cuda_kernelIiEEvPKT_PS2_llllll
		.amdhsa_group_segment_fixed_size 0
		.amdhsa_private_segment_fixed_size 0
		.amdhsa_kernarg_size 320
		.amdhsa_user_sgpr_count 6
		.amdhsa_user_sgpr_private_segment_buffer 1
		.amdhsa_user_sgpr_dispatch_ptr 0
		.amdhsa_user_sgpr_queue_ptr 0
		.amdhsa_user_sgpr_kernarg_segment_ptr 1
		.amdhsa_user_sgpr_dispatch_id 0
		.amdhsa_user_sgpr_flat_scratch_init 0
		.amdhsa_user_sgpr_private_segment_size 0
		.amdhsa_uses_dynamic_stack 0
		.amdhsa_system_sgpr_private_segment_wavefront_offset 0
		.amdhsa_system_sgpr_workgroup_id_x 1
		.amdhsa_system_sgpr_workgroup_id_y 0
		.amdhsa_system_sgpr_workgroup_id_z 0
		.amdhsa_system_sgpr_workgroup_info 0
		.amdhsa_system_vgpr_workitem_id 0
		.amdhsa_next_free_vgpr 16
		.amdhsa_next_free_sgpr 38
		.amdhsa_reserve_vcc 1
		.amdhsa_reserve_flat_scratch 0
		.amdhsa_float_round_mode_32 0
		.amdhsa_float_round_mode_16_64 0
		.amdhsa_float_denorm_mode_32 3
		.amdhsa_float_denorm_mode_16_64 3
		.amdhsa_dx10_clamp 1
		.amdhsa_ieee_mode 1
		.amdhsa_fp16_overflow 0
		.amdhsa_exception_fp_ieee_invalid_op 0
		.amdhsa_exception_fp_denorm_src 0
		.amdhsa_exception_fp_ieee_div_zero 0
		.amdhsa_exception_fp_ieee_overflow 0
		.amdhsa_exception_fp_ieee_underflow 0
		.amdhsa_exception_fp_ieee_inexact 0
		.amdhsa_exception_int_div_zero 0
	.end_amdhsa_kernel
	.section	.text._ZN2at6native16roll_cuda_kernelIiEEvPKT_PS2_llllll,"axG",@progbits,_ZN2at6native16roll_cuda_kernelIiEEvPKT_PS2_llllll,comdat
.Lfunc_end2:
	.size	_ZN2at6native16roll_cuda_kernelIiEEvPKT_PS2_llllll, .Lfunc_end2-_ZN2at6native16roll_cuda_kernelIiEEvPKT_PS2_llllll
                                        ; -- End function
	.set _ZN2at6native16roll_cuda_kernelIiEEvPKT_PS2_llllll.num_vgpr, 16
	.set _ZN2at6native16roll_cuda_kernelIiEEvPKT_PS2_llllll.num_agpr, 0
	.set _ZN2at6native16roll_cuda_kernelIiEEvPKT_PS2_llllll.numbered_sgpr, 38
	.set _ZN2at6native16roll_cuda_kernelIiEEvPKT_PS2_llllll.num_named_barrier, 0
	.set _ZN2at6native16roll_cuda_kernelIiEEvPKT_PS2_llllll.private_seg_size, 0
	.set _ZN2at6native16roll_cuda_kernelIiEEvPKT_PS2_llllll.uses_vcc, 1
	.set _ZN2at6native16roll_cuda_kernelIiEEvPKT_PS2_llllll.uses_flat_scratch, 0
	.set _ZN2at6native16roll_cuda_kernelIiEEvPKT_PS2_llllll.has_dyn_sized_stack, 0
	.set _ZN2at6native16roll_cuda_kernelIiEEvPKT_PS2_llllll.has_recursion, 0
	.set _ZN2at6native16roll_cuda_kernelIiEEvPKT_PS2_llllll.has_indirect_call, 0
	.section	.AMDGPU.csdata,"",@progbits
; Kernel info:
; codeLenInByte = 1812
; TotalNumSgprs: 42
; NumVgprs: 16
; ScratchSize: 0
; MemoryBound: 0
; FloatMode: 240
; IeeeMode: 1
; LDSByteSize: 0 bytes/workgroup (compile time only)
; SGPRBlocks: 5
; VGPRBlocks: 3
; NumSGPRsForWavesPerEU: 42
; NumVGPRsForWavesPerEU: 16
; Occupancy: 10
; WaveLimiterHint : 0
; COMPUTE_PGM_RSRC2:SCRATCH_EN: 0
; COMPUTE_PGM_RSRC2:USER_SGPR: 6
; COMPUTE_PGM_RSRC2:TRAP_HANDLER: 0
; COMPUTE_PGM_RSRC2:TGID_X_EN: 1
; COMPUTE_PGM_RSRC2:TGID_Y_EN: 0
; COMPUTE_PGM_RSRC2:TGID_Z_EN: 0
; COMPUTE_PGM_RSRC2:TIDIG_COMP_CNT: 0
	.section	.text._ZN2at6native16roll_cuda_kernelIlEEvPKT_PS2_llllll,"axG",@progbits,_ZN2at6native16roll_cuda_kernelIlEEvPKT_PS2_llllll,comdat
	.protected	_ZN2at6native16roll_cuda_kernelIlEEvPKT_PS2_llllll ; -- Begin function _ZN2at6native16roll_cuda_kernelIlEEvPKT_PS2_llllll
	.globl	_ZN2at6native16roll_cuda_kernelIlEEvPKT_PS2_llllll
	.p2align	8
	.type	_ZN2at6native16roll_cuda_kernelIlEEvPKT_PS2_llllll,@function
_ZN2at6native16roll_cuda_kernelIlEEvPKT_PS2_llllll: ; @_ZN2at6native16roll_cuda_kernelIlEEvPKT_PS2_llllll
; %bb.0:
	s_load_dword s2, s[4:5], 0x4c
	s_load_dwordx2 s[12:13], s[4:5], 0x10
	s_add_u32 s0, s4, 64
	v_mov_b32_e32 v2, 0
	s_addc_u32 s1, s5, 0
	s_waitcnt lgkmcnt(0)
	s_and_b32 s2, s2, 0xffff
	v_mov_b32_e32 v1, v2
	v_mov_b32_e32 v3, s6
	v_mad_u64_u32 v[0:1], s[6:7], s2, v3, v[0:1]
	v_cmp_gt_i64_e32 vcc, s[12:13], v[0:1]
	s_and_saveexec_b64 s[6:7], vcc
	s_cbranch_execz .LBB3_11
; %bb.1:
	s_load_dwordx2 s[6:7], s[4:5], 0x30
	s_load_dwordx4 s[16:19], s[4:5], 0x20
	s_load_dwordx4 s[8:11], s[4:5], 0x0
	s_load_dword s3, s[0:1], 0x0
	v_lshlrev_b64 v[4:5], 3, v[0:1]
	s_waitcnt lgkmcnt(0)
	s_mul_i32 s0, s6, s19
	s_mul_hi_u32 s1, s6, s18
	s_add_i32 s0, s1, s0
	s_mul_i32 s1, s7, s18
	s_add_i32 s26, s0, s1
	s_sub_u32 s4, s18, s16
	s_subb_u32 s5, s19, s17
	s_mul_i32 s0, s4, s7
	s_mul_hi_u32 s1, s4, s6
	s_mul_i32 s14, s6, s17
	s_mul_hi_u32 s15, s6, s16
	s_add_i32 s0, s1, s0
	s_mul_i32 s1, s5, s6
	s_add_i32 s14, s15, s14
	s_mul_i32 s15, s7, s16
	;; [unrolled: 2-line block ×4, first 2 shown]
	s_mov_b32 s15, 0
	s_sub_u32 s30, 0, s1
	s_mul_i32 s27, s6, s18
	s_mul_i32 s29, s6, s16
	s_mov_b64 s[16:17], 0
	s_subb_u32 s31, 0, s0
	s_lshl_b64 s[18:19], s[14:15], 3
	s_ashr_i32 s20, s26, 31
	s_branch .LBB3_3
.LBB3_2:                                ;   in Loop: Header=BB3_3 Depth=1
	s_or_b64 exec, exec, s[0:1]
	v_cmp_gt_i64_e32 vcc, s[4:5], v[8:9]
	v_mov_b32_e32 v3, s31
	v_mov_b32_e32 v6, s28
	v_cndmask_b32_e32 v7, v3, v6, vcc
	v_mov_b32_e32 v3, s30
	v_mov_b32_e32 v6, s29
	v_cndmask_b32_e32 v6, v3, v6, vcc
	v_lshlrev_b64 v[6:7], 3, v[6:7]
	v_mov_b32_e32 v8, s9
	v_add_co_u32_e32 v3, vcc, v4, v6
	v_addc_co_u32_e32 v7, vcc, v5, v7, vcc
	v_add_co_u32_e32 v6, vcc, s8, v3
	v_addc_co_u32_e32 v7, vcc, v8, v7, vcc
	global_load_dwordx2 v[6:7], v[6:7], off
	v_add_co_u32_e32 v0, vcc, s14, v0
	v_addc_co_u32_e32 v1, vcc, 0, v1, vcc
	v_cmp_le_i64_e32 vcc, s[12:13], v[0:1]
	v_mov_b32_e32 v3, s11
	v_mov_b32_e32 v10, s19
	v_add_co_u32_e64 v8, s[0:1], s10, v4
	s_or_b64 s[16:17], vcc, s[16:17]
	v_add_co_u32_e32 v4, vcc, s18, v4
	v_addc_co_u32_e64 v9, s[0:1], v3, v5, s[0:1]
	v_addc_co_u32_e32 v5, vcc, v5, v10, vcc
	s_waitcnt vmcnt(0)
	global_store_dwordx2 v[8:9], v[6:7], off
	s_andn2_b64 exec, exec, s[16:17]
	s_cbranch_execz .LBB3_11
.LBB3_3:                                ; =>This Inner Loop Header: Depth=1
	v_or_b32_e32 v3, s26, v1
	v_cmp_ne_u64_e32 vcc, 0, v[2:3]
                                        ; implicit-def: $vgpr6_vgpr7
	s_and_saveexec_b64 s[0:1], vcc
	s_xor_b64 s[22:23], exec, s[0:1]
	s_cbranch_execz .LBB3_5
; %bb.4:                                ;   in Loop: Header=BB3_3 Depth=1
	s_add_u32 s0, s27, s20
	s_mov_b32 s21, s20
	s_addc_u32 s1, s26, s20
	s_xor_b64 s[24:25], s[0:1], s[20:21]
	v_cvt_f32_u32_e32 v3, s24
	v_cvt_f32_u32_e32 v6, s25
	s_sub_u32 s2, 0, s24
	s_subb_u32 s3, 0, s25
	v_mac_f32_e32 v3, 0x4f800000, v6
	v_rcp_f32_e32 v3, v3
	v_mul_f32_e32 v3, 0x5f7ffffc, v3
	v_mul_f32_e32 v6, 0x2f800000, v3
	v_trunc_f32_e32 v6, v6
	v_mac_f32_e32 v3, 0xcf800000, v6
	v_cvt_u32_f32_e32 v6, v6
	v_cvt_u32_f32_e32 v3, v3
	v_readfirstlane_b32 s15, v6
	v_readfirstlane_b32 s0, v3
	s_mul_i32 s1, s2, s15
	s_mul_hi_u32 s33, s2, s0
	s_mul_i32 s21, s3, s0
	s_add_i32 s1, s33, s1
	s_add_i32 s1, s1, s21
	s_mul_i32 s34, s2, s0
	s_mul_i32 s33, s0, s1
	s_mul_hi_u32 s35, s0, s34
	s_mul_hi_u32 s21, s0, s1
	s_add_u32 s33, s35, s33
	s_addc_u32 s21, 0, s21
	s_mul_hi_u32 s36, s15, s34
	s_mul_i32 s34, s15, s34
	s_add_u32 s33, s33, s34
	s_mul_hi_u32 s35, s15, s1
	s_addc_u32 s21, s21, s36
	s_addc_u32 s33, s35, 0
	s_mul_i32 s1, s15, s1
	s_add_u32 s1, s21, s1
	s_addc_u32 s21, 0, s33
	s_add_u32 s33, s0, s1
	s_cselect_b64 s[0:1], -1, 0
	s_cmp_lg_u64 s[0:1], 0
	s_addc_u32 s15, s15, s21
	s_mul_i32 s0, s2, s15
	s_mul_hi_u32 s1, s2, s33
	s_add_i32 s0, s1, s0
	s_mul_i32 s3, s3, s33
	s_add_i32 s0, s0, s3
	s_mul_i32 s2, s2, s33
	s_mul_hi_u32 s3, s15, s2
	s_mul_i32 s21, s15, s2
	s_mul_i32 s35, s33, s0
	s_mul_hi_u32 s2, s33, s2
	s_mul_hi_u32 s34, s33, s0
	s_add_u32 s2, s2, s35
	s_addc_u32 s34, 0, s34
	s_add_u32 s2, s2, s21
	s_mul_hi_u32 s1, s15, s0
	s_addc_u32 s2, s34, s3
	s_addc_u32 s1, s1, 0
	s_mul_i32 s0, s15, s0
	s_add_u32 s0, s2, s0
	s_addc_u32 s2, 0, s1
	s_add_u32 s3, s33, s0
	s_cselect_b64 s[0:1], -1, 0
	v_ashrrev_i32_e32 v3, 31, v1
	s_cmp_lg_u64 s[0:1], 0
	v_add_co_u32_e32 v6, vcc, v0, v3
	s_addc_u32 s2, s15, s2
	v_xor_b32_e32 v10, v6, v3
	v_mad_u64_u32 v[6:7], s[0:1], v10, s2, 0
	v_mul_hi_u32 v9, v10, s3
	v_addc_co_u32_e32 v8, vcc, v1, v3, vcc
	v_xor_b32_e32 v11, v8, v3
	v_add_co_u32_e32 v12, vcc, v9, v6
	v_addc_co_u32_e32 v13, vcc, 0, v7, vcc
	v_mad_u64_u32 v[6:7], s[0:1], v11, s3, 0
	v_mad_u64_u32 v[8:9], s[0:1], v11, s2, 0
	v_add_co_u32_e32 v6, vcc, v12, v6
	v_addc_co_u32_e32 v6, vcc, v13, v7, vcc
	v_addc_co_u32_e32 v7, vcc, 0, v9, vcc
	v_add_co_u32_e32 v6, vcc, v6, v8
	v_addc_co_u32_e32 v7, vcc, 0, v7, vcc
	v_mul_lo_u32 v8, s25, v6
	v_mul_lo_u32 v9, s24, v7
	v_mad_u64_u32 v[6:7], s[0:1], s24, v6, 0
	v_add3_u32 v7, v7, v9, v8
	v_sub_u32_e32 v8, v11, v7
	v_mov_b32_e32 v9, s25
	v_sub_co_u32_e32 v6, vcc, v10, v6
	v_subb_co_u32_e64 v8, s[0:1], v8, v9, vcc
	v_subrev_co_u32_e64 v10, s[0:1], s24, v6
	v_subbrev_co_u32_e64 v12, s[2:3], 0, v8, s[0:1]
	v_cmp_le_u32_e64 s[2:3], s25, v12
	v_cndmask_b32_e64 v13, 0, -1, s[2:3]
	v_cmp_le_u32_e64 s[2:3], s24, v10
	v_subb_co_u32_e64 v8, s[0:1], v8, v9, s[0:1]
	v_cndmask_b32_e64 v14, 0, -1, s[2:3]
	v_cmp_eq_u32_e64 s[2:3], s25, v12
	v_subrev_co_u32_e64 v9, s[0:1], s24, v10
	v_subb_co_u32_e32 v7, vcc, v11, v7, vcc
	v_cndmask_b32_e64 v13, v13, v14, s[2:3]
	v_subbrev_co_u32_e64 v8, s[0:1], 0, v8, s[0:1]
	v_cmp_le_u32_e32 vcc, s25, v7
	v_cmp_ne_u32_e64 s[0:1], 0, v13
	v_cndmask_b32_e64 v11, 0, -1, vcc
	v_cmp_le_u32_e32 vcc, s24, v6
	v_cndmask_b32_e64 v8, v12, v8, s[0:1]
	v_cndmask_b32_e64 v12, 0, -1, vcc
	v_cmp_eq_u32_e32 vcc, s25, v7
	v_cndmask_b32_e32 v11, v11, v12, vcc
	v_cmp_ne_u32_e32 vcc, 0, v11
	v_cndmask_b32_e32 v7, v7, v8, vcc
	v_cndmask_b32_e64 v8, v10, v9, s[0:1]
	v_cndmask_b32_e32 v6, v6, v8, vcc
	v_xor_b32_e32 v6, v6, v3
	v_xor_b32_e32 v7, v7, v3
	v_sub_co_u32_e32 v6, vcc, v6, v3
	v_subb_co_u32_e32 v7, vcc, v7, v3, vcc
.LBB3_5:                                ;   in Loop: Header=BB3_3 Depth=1
	s_andn2_saveexec_b64 s[0:1], s[22:23]
	s_cbranch_execz .LBB3_7
; %bb.6:                                ;   in Loop: Header=BB3_3 Depth=1
	v_cvt_f32_u32_e32 v3, s27
	s_sub_i32 s2, 0, s27
	v_mov_b32_e32 v7, v2
	v_rcp_iflag_f32_e32 v3, v3
	v_mul_f32_e32 v3, 0x4f7ffffe, v3
	v_cvt_u32_f32_e32 v3, v3
	v_mul_lo_u32 v6, s2, v3
	v_mul_hi_u32 v6, v3, v6
	v_add_u32_e32 v3, v3, v6
	v_mul_hi_u32 v3, v0, v3
	v_mul_lo_u32 v3, v3, s27
	v_sub_u32_e32 v3, v0, v3
	v_subrev_u32_e32 v6, s27, v3
	v_cmp_le_u32_e32 vcc, s27, v3
	v_cndmask_b32_e32 v3, v3, v6, vcc
	v_subrev_u32_e32 v6, s27, v3
	v_cmp_le_u32_e32 vcc, s27, v3
	v_cndmask_b32_e32 v6, v3, v6, vcc
.LBB3_7:                                ;   in Loop: Header=BB3_3 Depth=1
	s_or_b64 exec, exec, s[0:1]
	v_or_b32_e32 v3, s7, v7
	v_cmp_ne_u64_e32 vcc, 0, v[2:3]
                                        ; implicit-def: $vgpr8_vgpr9
	s_and_saveexec_b64 s[0:1], vcc
	s_xor_b64 s[2:3], exec, s[0:1]
	s_cbranch_execz .LBB3_9
; %bb.8:                                ;   in Loop: Header=BB3_3 Depth=1
	s_ashr_i32 s22, s7, 31
	s_add_u32 s0, s6, s22
	s_mov_b32 s23, s22
	s_addc_u32 s1, s7, s22
	s_xor_b64 s[24:25], s[0:1], s[22:23]
	v_cvt_f32_u32_e32 v3, s24
	v_cvt_f32_u32_e32 v8, s25
	s_sub_u32 s15, 0, s24
	s_subb_u32 s21, 0, s25
	v_mac_f32_e32 v3, 0x4f800000, v8
	v_rcp_f32_e32 v3, v3
	v_mul_f32_e32 v3, 0x5f7ffffc, v3
	v_mul_f32_e32 v8, 0x2f800000, v3
	v_trunc_f32_e32 v8, v8
	v_mac_f32_e32 v3, 0xcf800000, v8
	v_cvt_u32_f32_e32 v8, v8
	v_cvt_u32_f32_e32 v3, v3
	v_readfirstlane_b32 s23, v8
	v_readfirstlane_b32 s0, v3
	s_mul_i32 s1, s15, s23
	s_mul_hi_u32 s34, s15, s0
	s_mul_i32 s33, s21, s0
	s_add_i32 s1, s34, s1
	s_add_i32 s1, s1, s33
	s_mul_i32 s35, s15, s0
	s_mul_i32 s34, s0, s1
	s_mul_hi_u32 s36, s0, s35
	s_mul_hi_u32 s33, s0, s1
	s_add_u32 s34, s36, s34
	s_addc_u32 s33, 0, s33
	s_mul_hi_u32 s37, s23, s35
	s_mul_i32 s35, s23, s35
	s_add_u32 s34, s34, s35
	s_mul_hi_u32 s36, s23, s1
	s_addc_u32 s33, s33, s37
	s_addc_u32 s34, s36, 0
	s_mul_i32 s1, s23, s1
	s_add_u32 s1, s33, s1
	s_addc_u32 s33, 0, s34
	s_add_u32 s34, s0, s1
	s_cselect_b64 s[0:1], -1, 0
	s_cmp_lg_u64 s[0:1], 0
	s_addc_u32 s23, s23, s33
	s_mul_i32 s0, s15, s23
	s_mul_hi_u32 s1, s15, s34
	s_add_i32 s0, s1, s0
	s_mul_i32 s21, s21, s34
	s_add_i32 s0, s0, s21
	s_mul_i32 s15, s15, s34
	s_mul_hi_u32 s21, s23, s15
	s_mul_i32 s33, s23, s15
	s_mul_i32 s36, s34, s0
	s_mul_hi_u32 s15, s34, s15
	s_mul_hi_u32 s35, s34, s0
	s_add_u32 s15, s15, s36
	s_addc_u32 s35, 0, s35
	s_add_u32 s15, s15, s33
	s_mul_hi_u32 s1, s23, s0
	s_addc_u32 s15, s35, s21
	s_addc_u32 s1, s1, 0
	s_mul_i32 s0, s23, s0
	s_add_u32 s0, s15, s0
	s_addc_u32 s15, 0, s1
	s_add_u32 s21, s34, s0
	s_cselect_b64 s[0:1], -1, 0
	v_ashrrev_i32_e32 v3, 31, v7
	s_cmp_lg_u64 s[0:1], 0
	v_add_co_u32_e32 v6, vcc, v6, v3
	s_addc_u32 s15, s23, s15
	v_xor_b32_e32 v10, v6, v3
	v_addc_co_u32_e32 v8, vcc, v7, v3, vcc
	v_mad_u64_u32 v[6:7], s[0:1], v10, s15, 0
	v_mul_hi_u32 v9, v10, s21
	v_xor_b32_e32 v11, v8, v3
	v_xor_b32_e32 v3, s22, v3
	v_add_co_u32_e32 v12, vcc, v9, v6
	v_addc_co_u32_e32 v13, vcc, 0, v7, vcc
	v_mad_u64_u32 v[6:7], s[0:1], v11, s21, 0
	v_mad_u64_u32 v[8:9], s[0:1], v11, s15, 0
	v_add_co_u32_e32 v6, vcc, v12, v6
	v_addc_co_u32_e32 v6, vcc, v13, v7, vcc
	v_addc_co_u32_e32 v7, vcc, 0, v9, vcc
	v_add_co_u32_e32 v8, vcc, v6, v8
	v_addc_co_u32_e32 v9, vcc, 0, v7, vcc
	v_mul_lo_u32 v12, s25, v8
	v_mul_lo_u32 v13, s24, v9
	v_mad_u64_u32 v[6:7], s[0:1], s24, v8, 0
	v_add3_u32 v7, v7, v13, v12
	v_sub_u32_e32 v12, v11, v7
	v_mov_b32_e32 v13, s25
	v_sub_co_u32_e32 v6, vcc, v10, v6
	v_subb_co_u32_e64 v10, s[0:1], v12, v13, vcc
	v_subrev_co_u32_e64 v12, s[0:1], s24, v6
	v_subbrev_co_u32_e64 v10, s[0:1], 0, v10, s[0:1]
	v_cmp_le_u32_e64 s[0:1], s25, v10
	v_cndmask_b32_e64 v13, 0, -1, s[0:1]
	v_cmp_le_u32_e64 s[0:1], s24, v12
	v_cndmask_b32_e64 v12, 0, -1, s[0:1]
	v_cmp_eq_u32_e64 s[0:1], s25, v10
	v_cndmask_b32_e64 v10, v13, v12, s[0:1]
	v_add_co_u32_e64 v12, s[0:1], 2, v8
	v_subb_co_u32_e32 v7, vcc, v11, v7, vcc
	v_addc_co_u32_e64 v13, s[0:1], 0, v9, s[0:1]
	v_cmp_le_u32_e32 vcc, s25, v7
	v_add_co_u32_e64 v14, s[0:1], 1, v8
	v_cndmask_b32_e64 v11, 0, -1, vcc
	v_cmp_le_u32_e32 vcc, s24, v6
	v_addc_co_u32_e64 v15, s[0:1], 0, v9, s[0:1]
	v_cndmask_b32_e64 v6, 0, -1, vcc
	v_cmp_eq_u32_e32 vcc, s25, v7
	v_cmp_ne_u32_e64 s[0:1], 0, v10
	v_cndmask_b32_e32 v6, v11, v6, vcc
	v_cmp_ne_u32_e32 vcc, 0, v6
	v_cndmask_b32_e64 v7, v14, v12, s[0:1]
	v_cndmask_b32_e64 v10, v15, v13, s[0:1]
	v_cndmask_b32_e32 v7, v8, v7, vcc
	v_cndmask_b32_e32 v6, v9, v10, vcc
	v_xor_b32_e32 v7, v7, v3
	v_xor_b32_e32 v6, v6, v3
	v_sub_co_u32_e32 v8, vcc, v7, v3
	v_subb_co_u32_e32 v9, vcc, v6, v3, vcc
                                        ; implicit-def: $vgpr6_vgpr7
.LBB3_9:                                ;   in Loop: Header=BB3_3 Depth=1
	s_andn2_saveexec_b64 s[0:1], s[2:3]
	s_cbranch_execz .LBB3_2
; %bb.10:                               ;   in Loop: Header=BB3_3 Depth=1
	v_cvt_f32_u32_e32 v3, s6
	s_sub_i32 s2, 0, s6
	v_mov_b32_e32 v9, v2
	v_rcp_iflag_f32_e32 v3, v3
	v_mul_f32_e32 v3, 0x4f7ffffe, v3
	v_cvt_u32_f32_e32 v3, v3
	v_mul_lo_u32 v7, s2, v3
	v_mul_hi_u32 v7, v3, v7
	v_add_u32_e32 v3, v3, v7
	v_mul_hi_u32 v3, v6, v3
	v_mul_lo_u32 v7, v3, s6
	v_add_u32_e32 v8, 1, v3
	v_sub_u32_e32 v6, v6, v7
	v_subrev_u32_e32 v7, s6, v6
	v_cmp_le_u32_e32 vcc, s6, v6
	v_cndmask_b32_e32 v6, v6, v7, vcc
	v_cndmask_b32_e32 v3, v3, v8, vcc
	v_add_u32_e32 v7, 1, v3
	v_cmp_le_u32_e32 vcc, s6, v6
	v_cndmask_b32_e32 v8, v3, v7, vcc
	s_branch .LBB3_2
.LBB3_11:
	s_endpgm
	.section	.rodata,"a",@progbits
	.p2align	6, 0x0
	.amdhsa_kernel _ZN2at6native16roll_cuda_kernelIlEEvPKT_PS2_llllll
		.amdhsa_group_segment_fixed_size 0
		.amdhsa_private_segment_fixed_size 0
		.amdhsa_kernarg_size 320
		.amdhsa_user_sgpr_count 6
		.amdhsa_user_sgpr_private_segment_buffer 1
		.amdhsa_user_sgpr_dispatch_ptr 0
		.amdhsa_user_sgpr_queue_ptr 0
		.amdhsa_user_sgpr_kernarg_segment_ptr 1
		.amdhsa_user_sgpr_dispatch_id 0
		.amdhsa_user_sgpr_flat_scratch_init 0
		.amdhsa_user_sgpr_private_segment_size 0
		.amdhsa_uses_dynamic_stack 0
		.amdhsa_system_sgpr_private_segment_wavefront_offset 0
		.amdhsa_system_sgpr_workgroup_id_x 1
		.amdhsa_system_sgpr_workgroup_id_y 0
		.amdhsa_system_sgpr_workgroup_id_z 0
		.amdhsa_system_sgpr_workgroup_info 0
		.amdhsa_system_vgpr_workitem_id 0
		.amdhsa_next_free_vgpr 16
		.amdhsa_next_free_sgpr 38
		.amdhsa_reserve_vcc 1
		.amdhsa_reserve_flat_scratch 0
		.amdhsa_float_round_mode_32 0
		.amdhsa_float_round_mode_16_64 0
		.amdhsa_float_denorm_mode_32 3
		.amdhsa_float_denorm_mode_16_64 3
		.amdhsa_dx10_clamp 1
		.amdhsa_ieee_mode 1
		.amdhsa_fp16_overflow 0
		.amdhsa_exception_fp_ieee_invalid_op 0
		.amdhsa_exception_fp_denorm_src 0
		.amdhsa_exception_fp_ieee_div_zero 0
		.amdhsa_exception_fp_ieee_overflow 0
		.amdhsa_exception_fp_ieee_underflow 0
		.amdhsa_exception_fp_ieee_inexact 0
		.amdhsa_exception_int_div_zero 0
	.end_amdhsa_kernel
	.section	.text._ZN2at6native16roll_cuda_kernelIlEEvPKT_PS2_llllll,"axG",@progbits,_ZN2at6native16roll_cuda_kernelIlEEvPKT_PS2_llllll,comdat
.Lfunc_end3:
	.size	_ZN2at6native16roll_cuda_kernelIlEEvPKT_PS2_llllll, .Lfunc_end3-_ZN2at6native16roll_cuda_kernelIlEEvPKT_PS2_llllll
                                        ; -- End function
	.set _ZN2at6native16roll_cuda_kernelIlEEvPKT_PS2_llllll.num_vgpr, 16
	.set _ZN2at6native16roll_cuda_kernelIlEEvPKT_PS2_llllll.num_agpr, 0
	.set _ZN2at6native16roll_cuda_kernelIlEEvPKT_PS2_llllll.numbered_sgpr, 38
	.set _ZN2at6native16roll_cuda_kernelIlEEvPKT_PS2_llllll.num_named_barrier, 0
	.set _ZN2at6native16roll_cuda_kernelIlEEvPKT_PS2_llllll.private_seg_size, 0
	.set _ZN2at6native16roll_cuda_kernelIlEEvPKT_PS2_llllll.uses_vcc, 1
	.set _ZN2at6native16roll_cuda_kernelIlEEvPKT_PS2_llllll.uses_flat_scratch, 0
	.set _ZN2at6native16roll_cuda_kernelIlEEvPKT_PS2_llllll.has_dyn_sized_stack, 0
	.set _ZN2at6native16roll_cuda_kernelIlEEvPKT_PS2_llllll.has_recursion, 0
	.set _ZN2at6native16roll_cuda_kernelIlEEvPKT_PS2_llllll.has_indirect_call, 0
	.section	.AMDGPU.csdata,"",@progbits
; Kernel info:
; codeLenInByte = 1812
; TotalNumSgprs: 42
; NumVgprs: 16
; ScratchSize: 0
; MemoryBound: 0
; FloatMode: 240
; IeeeMode: 1
; LDSByteSize: 0 bytes/workgroup (compile time only)
; SGPRBlocks: 5
; VGPRBlocks: 3
; NumSGPRsForWavesPerEU: 42
; NumVGPRsForWavesPerEU: 16
; Occupancy: 10
; WaveLimiterHint : 0
; COMPUTE_PGM_RSRC2:SCRATCH_EN: 0
; COMPUTE_PGM_RSRC2:USER_SGPR: 6
; COMPUTE_PGM_RSRC2:TRAP_HANDLER: 0
; COMPUTE_PGM_RSRC2:TGID_X_EN: 1
; COMPUTE_PGM_RSRC2:TGID_Y_EN: 0
; COMPUTE_PGM_RSRC2:TGID_Z_EN: 0
; COMPUTE_PGM_RSRC2:TIDIG_COMP_CNT: 0
	.section	.text._ZN2at6native16roll_cuda_kernelIsEEvPKT_PS2_llllll,"axG",@progbits,_ZN2at6native16roll_cuda_kernelIsEEvPKT_PS2_llllll,comdat
	.protected	_ZN2at6native16roll_cuda_kernelIsEEvPKT_PS2_llllll ; -- Begin function _ZN2at6native16roll_cuda_kernelIsEEvPKT_PS2_llllll
	.globl	_ZN2at6native16roll_cuda_kernelIsEEvPKT_PS2_llllll
	.p2align	8
	.type	_ZN2at6native16roll_cuda_kernelIsEEvPKT_PS2_llllll,@function
_ZN2at6native16roll_cuda_kernelIsEEvPKT_PS2_llllll: ; @_ZN2at6native16roll_cuda_kernelIsEEvPKT_PS2_llllll
; %bb.0:
	s_load_dword s2, s[4:5], 0x4c
	s_load_dwordx2 s[12:13], s[4:5], 0x10
	s_add_u32 s0, s4, 64
	v_mov_b32_e32 v2, 0
	s_addc_u32 s1, s5, 0
	s_waitcnt lgkmcnt(0)
	s_and_b32 s2, s2, 0xffff
	v_mov_b32_e32 v1, v2
	v_mov_b32_e32 v3, s6
	v_mad_u64_u32 v[0:1], s[6:7], s2, v3, v[0:1]
	v_cmp_gt_i64_e32 vcc, s[12:13], v[0:1]
	s_and_saveexec_b64 s[6:7], vcc
	s_cbranch_execz .LBB4_11
; %bb.1:
	s_load_dwordx2 s[6:7], s[4:5], 0x30
	s_load_dwordx4 s[16:19], s[4:5], 0x20
	s_load_dwordx4 s[8:11], s[4:5], 0x0
	s_load_dword s3, s[0:1], 0x0
	v_lshlrev_b64 v[4:5], 1, v[0:1]
	s_waitcnt lgkmcnt(0)
	s_mul_i32 s0, s6, s19
	s_mul_hi_u32 s1, s6, s18
	s_add_i32 s0, s1, s0
	s_mul_i32 s1, s7, s18
	s_add_i32 s26, s0, s1
	s_sub_u32 s4, s18, s16
	s_subb_u32 s5, s19, s17
	s_mul_i32 s0, s4, s7
	s_mul_hi_u32 s1, s4, s6
	s_mul_i32 s14, s6, s17
	s_mul_hi_u32 s15, s6, s16
	s_add_i32 s0, s1, s0
	s_mul_i32 s1, s5, s6
	s_add_i32 s14, s15, s14
	s_mul_i32 s15, s7, s16
	;; [unrolled: 2-line block ×4, first 2 shown]
	s_mov_b32 s15, 0
	s_sub_u32 s30, 0, s1
	s_mul_i32 s27, s6, s18
	s_mul_i32 s29, s6, s16
	s_mov_b64 s[16:17], 0
	s_subb_u32 s31, 0, s0
	s_lshl_b64 s[18:19], s[14:15], 1
	s_ashr_i32 s20, s26, 31
	s_branch .LBB4_3
.LBB4_2:                                ;   in Loop: Header=BB4_3 Depth=1
	s_or_b64 exec, exec, s[0:1]
	v_cmp_gt_i64_e32 vcc, s[4:5], v[8:9]
	v_mov_b32_e32 v3, s31
	v_mov_b32_e32 v6, s28
	v_cndmask_b32_e32 v7, v3, v6, vcc
	v_mov_b32_e32 v3, s30
	v_mov_b32_e32 v6, s29
	v_cndmask_b32_e32 v6, v3, v6, vcc
	v_lshlrev_b64 v[6:7], 1, v[6:7]
	v_mov_b32_e32 v8, s9
	v_add_co_u32_e32 v3, vcc, v4, v6
	v_addc_co_u32_e32 v7, vcc, v5, v7, vcc
	v_add_co_u32_e32 v6, vcc, s8, v3
	v_addc_co_u32_e32 v7, vcc, v8, v7, vcc
	global_load_ushort v3, v[6:7], off
	v_add_co_u32_e32 v0, vcc, s14, v0
	v_addc_co_u32_e32 v1, vcc, 0, v1, vcc
	v_cmp_le_i64_e32 vcc, s[12:13], v[0:1]
	v_mov_b32_e32 v7, s11
	v_mov_b32_e32 v8, s19
	v_add_co_u32_e64 v6, s[0:1], s10, v4
	s_or_b64 s[16:17], vcc, s[16:17]
	v_add_co_u32_e32 v4, vcc, s18, v4
	v_addc_co_u32_e64 v7, s[0:1], v7, v5, s[0:1]
	v_addc_co_u32_e32 v5, vcc, v5, v8, vcc
	s_waitcnt vmcnt(0)
	global_store_short v[6:7], v3, off
	s_andn2_b64 exec, exec, s[16:17]
	s_cbranch_execz .LBB4_11
.LBB4_3:                                ; =>This Inner Loop Header: Depth=1
	v_or_b32_e32 v3, s26, v1
	v_cmp_ne_u64_e32 vcc, 0, v[2:3]
                                        ; implicit-def: $vgpr6_vgpr7
	s_and_saveexec_b64 s[0:1], vcc
	s_xor_b64 s[22:23], exec, s[0:1]
	s_cbranch_execz .LBB4_5
; %bb.4:                                ;   in Loop: Header=BB4_3 Depth=1
	s_add_u32 s0, s27, s20
	s_mov_b32 s21, s20
	s_addc_u32 s1, s26, s20
	s_xor_b64 s[24:25], s[0:1], s[20:21]
	v_cvt_f32_u32_e32 v3, s24
	v_cvt_f32_u32_e32 v6, s25
	s_sub_u32 s2, 0, s24
	s_subb_u32 s3, 0, s25
	v_mac_f32_e32 v3, 0x4f800000, v6
	v_rcp_f32_e32 v3, v3
	v_mul_f32_e32 v3, 0x5f7ffffc, v3
	v_mul_f32_e32 v6, 0x2f800000, v3
	v_trunc_f32_e32 v6, v6
	v_mac_f32_e32 v3, 0xcf800000, v6
	v_cvt_u32_f32_e32 v6, v6
	v_cvt_u32_f32_e32 v3, v3
	v_readfirstlane_b32 s15, v6
	v_readfirstlane_b32 s0, v3
	s_mul_i32 s1, s2, s15
	s_mul_hi_u32 s33, s2, s0
	s_mul_i32 s21, s3, s0
	s_add_i32 s1, s33, s1
	s_add_i32 s1, s1, s21
	s_mul_i32 s34, s2, s0
	s_mul_i32 s33, s0, s1
	s_mul_hi_u32 s35, s0, s34
	s_mul_hi_u32 s21, s0, s1
	s_add_u32 s33, s35, s33
	s_addc_u32 s21, 0, s21
	s_mul_hi_u32 s36, s15, s34
	s_mul_i32 s34, s15, s34
	s_add_u32 s33, s33, s34
	s_mul_hi_u32 s35, s15, s1
	s_addc_u32 s21, s21, s36
	s_addc_u32 s33, s35, 0
	s_mul_i32 s1, s15, s1
	s_add_u32 s1, s21, s1
	s_addc_u32 s21, 0, s33
	s_add_u32 s33, s0, s1
	s_cselect_b64 s[0:1], -1, 0
	s_cmp_lg_u64 s[0:1], 0
	s_addc_u32 s15, s15, s21
	s_mul_i32 s0, s2, s15
	s_mul_hi_u32 s1, s2, s33
	s_add_i32 s0, s1, s0
	s_mul_i32 s3, s3, s33
	s_add_i32 s0, s0, s3
	s_mul_i32 s2, s2, s33
	s_mul_hi_u32 s3, s15, s2
	s_mul_i32 s21, s15, s2
	s_mul_i32 s35, s33, s0
	s_mul_hi_u32 s2, s33, s2
	s_mul_hi_u32 s34, s33, s0
	s_add_u32 s2, s2, s35
	s_addc_u32 s34, 0, s34
	s_add_u32 s2, s2, s21
	s_mul_hi_u32 s1, s15, s0
	s_addc_u32 s2, s34, s3
	s_addc_u32 s1, s1, 0
	s_mul_i32 s0, s15, s0
	s_add_u32 s0, s2, s0
	s_addc_u32 s2, 0, s1
	s_add_u32 s3, s33, s0
	s_cselect_b64 s[0:1], -1, 0
	v_ashrrev_i32_e32 v3, 31, v1
	s_cmp_lg_u64 s[0:1], 0
	v_add_co_u32_e32 v6, vcc, v0, v3
	s_addc_u32 s2, s15, s2
	v_xor_b32_e32 v10, v6, v3
	v_mad_u64_u32 v[6:7], s[0:1], v10, s2, 0
	v_mul_hi_u32 v9, v10, s3
	v_addc_co_u32_e32 v8, vcc, v1, v3, vcc
	v_xor_b32_e32 v11, v8, v3
	v_add_co_u32_e32 v12, vcc, v9, v6
	v_addc_co_u32_e32 v13, vcc, 0, v7, vcc
	v_mad_u64_u32 v[6:7], s[0:1], v11, s3, 0
	v_mad_u64_u32 v[8:9], s[0:1], v11, s2, 0
	v_add_co_u32_e32 v6, vcc, v12, v6
	v_addc_co_u32_e32 v6, vcc, v13, v7, vcc
	v_addc_co_u32_e32 v7, vcc, 0, v9, vcc
	v_add_co_u32_e32 v6, vcc, v6, v8
	v_addc_co_u32_e32 v7, vcc, 0, v7, vcc
	v_mul_lo_u32 v8, s25, v6
	v_mul_lo_u32 v9, s24, v7
	v_mad_u64_u32 v[6:7], s[0:1], s24, v6, 0
	v_add3_u32 v7, v7, v9, v8
	v_sub_u32_e32 v8, v11, v7
	v_mov_b32_e32 v9, s25
	v_sub_co_u32_e32 v6, vcc, v10, v6
	v_subb_co_u32_e64 v8, s[0:1], v8, v9, vcc
	v_subrev_co_u32_e64 v10, s[0:1], s24, v6
	v_subbrev_co_u32_e64 v12, s[2:3], 0, v8, s[0:1]
	v_cmp_le_u32_e64 s[2:3], s25, v12
	v_cndmask_b32_e64 v13, 0, -1, s[2:3]
	v_cmp_le_u32_e64 s[2:3], s24, v10
	v_subb_co_u32_e64 v8, s[0:1], v8, v9, s[0:1]
	v_cndmask_b32_e64 v14, 0, -1, s[2:3]
	v_cmp_eq_u32_e64 s[2:3], s25, v12
	v_subrev_co_u32_e64 v9, s[0:1], s24, v10
	v_subb_co_u32_e32 v7, vcc, v11, v7, vcc
	v_cndmask_b32_e64 v13, v13, v14, s[2:3]
	v_subbrev_co_u32_e64 v8, s[0:1], 0, v8, s[0:1]
	v_cmp_le_u32_e32 vcc, s25, v7
	v_cmp_ne_u32_e64 s[0:1], 0, v13
	v_cndmask_b32_e64 v11, 0, -1, vcc
	v_cmp_le_u32_e32 vcc, s24, v6
	v_cndmask_b32_e64 v8, v12, v8, s[0:1]
	v_cndmask_b32_e64 v12, 0, -1, vcc
	v_cmp_eq_u32_e32 vcc, s25, v7
	v_cndmask_b32_e32 v11, v11, v12, vcc
	v_cmp_ne_u32_e32 vcc, 0, v11
	v_cndmask_b32_e32 v7, v7, v8, vcc
	v_cndmask_b32_e64 v8, v10, v9, s[0:1]
	v_cndmask_b32_e32 v6, v6, v8, vcc
	v_xor_b32_e32 v6, v6, v3
	v_xor_b32_e32 v7, v7, v3
	v_sub_co_u32_e32 v6, vcc, v6, v3
	v_subb_co_u32_e32 v7, vcc, v7, v3, vcc
.LBB4_5:                                ;   in Loop: Header=BB4_3 Depth=1
	s_andn2_saveexec_b64 s[0:1], s[22:23]
	s_cbranch_execz .LBB4_7
; %bb.6:                                ;   in Loop: Header=BB4_3 Depth=1
	v_cvt_f32_u32_e32 v3, s27
	s_sub_i32 s2, 0, s27
	v_mov_b32_e32 v7, v2
	v_rcp_iflag_f32_e32 v3, v3
	v_mul_f32_e32 v3, 0x4f7ffffe, v3
	v_cvt_u32_f32_e32 v3, v3
	v_mul_lo_u32 v6, s2, v3
	v_mul_hi_u32 v6, v3, v6
	v_add_u32_e32 v3, v3, v6
	v_mul_hi_u32 v3, v0, v3
	v_mul_lo_u32 v3, v3, s27
	v_sub_u32_e32 v3, v0, v3
	v_subrev_u32_e32 v6, s27, v3
	v_cmp_le_u32_e32 vcc, s27, v3
	v_cndmask_b32_e32 v3, v3, v6, vcc
	v_subrev_u32_e32 v6, s27, v3
	v_cmp_le_u32_e32 vcc, s27, v3
	v_cndmask_b32_e32 v6, v3, v6, vcc
.LBB4_7:                                ;   in Loop: Header=BB4_3 Depth=1
	s_or_b64 exec, exec, s[0:1]
	v_or_b32_e32 v3, s7, v7
	v_cmp_ne_u64_e32 vcc, 0, v[2:3]
                                        ; implicit-def: $vgpr8_vgpr9
	s_and_saveexec_b64 s[0:1], vcc
	s_xor_b64 s[2:3], exec, s[0:1]
	s_cbranch_execz .LBB4_9
; %bb.8:                                ;   in Loop: Header=BB4_3 Depth=1
	s_ashr_i32 s22, s7, 31
	s_add_u32 s0, s6, s22
	s_mov_b32 s23, s22
	s_addc_u32 s1, s7, s22
	s_xor_b64 s[24:25], s[0:1], s[22:23]
	v_cvt_f32_u32_e32 v3, s24
	v_cvt_f32_u32_e32 v8, s25
	s_sub_u32 s15, 0, s24
	s_subb_u32 s21, 0, s25
	v_mac_f32_e32 v3, 0x4f800000, v8
	v_rcp_f32_e32 v3, v3
	v_mul_f32_e32 v3, 0x5f7ffffc, v3
	v_mul_f32_e32 v8, 0x2f800000, v3
	v_trunc_f32_e32 v8, v8
	v_mac_f32_e32 v3, 0xcf800000, v8
	v_cvt_u32_f32_e32 v8, v8
	v_cvt_u32_f32_e32 v3, v3
	v_readfirstlane_b32 s23, v8
	v_readfirstlane_b32 s0, v3
	s_mul_i32 s1, s15, s23
	s_mul_hi_u32 s34, s15, s0
	s_mul_i32 s33, s21, s0
	s_add_i32 s1, s34, s1
	s_add_i32 s1, s1, s33
	s_mul_i32 s35, s15, s0
	s_mul_i32 s34, s0, s1
	s_mul_hi_u32 s36, s0, s35
	s_mul_hi_u32 s33, s0, s1
	s_add_u32 s34, s36, s34
	s_addc_u32 s33, 0, s33
	s_mul_hi_u32 s37, s23, s35
	s_mul_i32 s35, s23, s35
	s_add_u32 s34, s34, s35
	s_mul_hi_u32 s36, s23, s1
	s_addc_u32 s33, s33, s37
	s_addc_u32 s34, s36, 0
	s_mul_i32 s1, s23, s1
	s_add_u32 s1, s33, s1
	s_addc_u32 s33, 0, s34
	s_add_u32 s34, s0, s1
	s_cselect_b64 s[0:1], -1, 0
	s_cmp_lg_u64 s[0:1], 0
	s_addc_u32 s23, s23, s33
	s_mul_i32 s0, s15, s23
	s_mul_hi_u32 s1, s15, s34
	s_add_i32 s0, s1, s0
	s_mul_i32 s21, s21, s34
	s_add_i32 s0, s0, s21
	s_mul_i32 s15, s15, s34
	s_mul_hi_u32 s21, s23, s15
	s_mul_i32 s33, s23, s15
	s_mul_i32 s36, s34, s0
	s_mul_hi_u32 s15, s34, s15
	s_mul_hi_u32 s35, s34, s0
	s_add_u32 s15, s15, s36
	s_addc_u32 s35, 0, s35
	s_add_u32 s15, s15, s33
	s_mul_hi_u32 s1, s23, s0
	s_addc_u32 s15, s35, s21
	s_addc_u32 s1, s1, 0
	s_mul_i32 s0, s23, s0
	s_add_u32 s0, s15, s0
	s_addc_u32 s15, 0, s1
	s_add_u32 s21, s34, s0
	s_cselect_b64 s[0:1], -1, 0
	v_ashrrev_i32_e32 v3, 31, v7
	s_cmp_lg_u64 s[0:1], 0
	v_add_co_u32_e32 v6, vcc, v6, v3
	s_addc_u32 s15, s23, s15
	v_xor_b32_e32 v10, v6, v3
	v_addc_co_u32_e32 v8, vcc, v7, v3, vcc
	v_mad_u64_u32 v[6:7], s[0:1], v10, s15, 0
	v_mul_hi_u32 v9, v10, s21
	v_xor_b32_e32 v11, v8, v3
	v_xor_b32_e32 v3, s22, v3
	v_add_co_u32_e32 v12, vcc, v9, v6
	v_addc_co_u32_e32 v13, vcc, 0, v7, vcc
	v_mad_u64_u32 v[6:7], s[0:1], v11, s21, 0
	v_mad_u64_u32 v[8:9], s[0:1], v11, s15, 0
	v_add_co_u32_e32 v6, vcc, v12, v6
	v_addc_co_u32_e32 v6, vcc, v13, v7, vcc
	v_addc_co_u32_e32 v7, vcc, 0, v9, vcc
	v_add_co_u32_e32 v8, vcc, v6, v8
	v_addc_co_u32_e32 v9, vcc, 0, v7, vcc
	v_mul_lo_u32 v12, s25, v8
	v_mul_lo_u32 v13, s24, v9
	v_mad_u64_u32 v[6:7], s[0:1], s24, v8, 0
	v_add3_u32 v7, v7, v13, v12
	v_sub_u32_e32 v12, v11, v7
	v_mov_b32_e32 v13, s25
	v_sub_co_u32_e32 v6, vcc, v10, v6
	v_subb_co_u32_e64 v10, s[0:1], v12, v13, vcc
	v_subrev_co_u32_e64 v12, s[0:1], s24, v6
	v_subbrev_co_u32_e64 v10, s[0:1], 0, v10, s[0:1]
	v_cmp_le_u32_e64 s[0:1], s25, v10
	v_cndmask_b32_e64 v13, 0, -1, s[0:1]
	v_cmp_le_u32_e64 s[0:1], s24, v12
	v_cndmask_b32_e64 v12, 0, -1, s[0:1]
	v_cmp_eq_u32_e64 s[0:1], s25, v10
	v_cndmask_b32_e64 v10, v13, v12, s[0:1]
	v_add_co_u32_e64 v12, s[0:1], 2, v8
	v_subb_co_u32_e32 v7, vcc, v11, v7, vcc
	v_addc_co_u32_e64 v13, s[0:1], 0, v9, s[0:1]
	v_cmp_le_u32_e32 vcc, s25, v7
	v_add_co_u32_e64 v14, s[0:1], 1, v8
	v_cndmask_b32_e64 v11, 0, -1, vcc
	v_cmp_le_u32_e32 vcc, s24, v6
	v_addc_co_u32_e64 v15, s[0:1], 0, v9, s[0:1]
	v_cndmask_b32_e64 v6, 0, -1, vcc
	v_cmp_eq_u32_e32 vcc, s25, v7
	v_cmp_ne_u32_e64 s[0:1], 0, v10
	v_cndmask_b32_e32 v6, v11, v6, vcc
	v_cmp_ne_u32_e32 vcc, 0, v6
	v_cndmask_b32_e64 v7, v14, v12, s[0:1]
	v_cndmask_b32_e64 v10, v15, v13, s[0:1]
	v_cndmask_b32_e32 v7, v8, v7, vcc
	v_cndmask_b32_e32 v6, v9, v10, vcc
	v_xor_b32_e32 v7, v7, v3
	v_xor_b32_e32 v6, v6, v3
	v_sub_co_u32_e32 v8, vcc, v7, v3
	v_subb_co_u32_e32 v9, vcc, v6, v3, vcc
                                        ; implicit-def: $vgpr6_vgpr7
.LBB4_9:                                ;   in Loop: Header=BB4_3 Depth=1
	s_andn2_saveexec_b64 s[0:1], s[2:3]
	s_cbranch_execz .LBB4_2
; %bb.10:                               ;   in Loop: Header=BB4_3 Depth=1
	v_cvt_f32_u32_e32 v3, s6
	s_sub_i32 s2, 0, s6
	v_mov_b32_e32 v9, v2
	v_rcp_iflag_f32_e32 v3, v3
	v_mul_f32_e32 v3, 0x4f7ffffe, v3
	v_cvt_u32_f32_e32 v3, v3
	v_mul_lo_u32 v7, s2, v3
	v_mul_hi_u32 v7, v3, v7
	v_add_u32_e32 v3, v3, v7
	v_mul_hi_u32 v3, v6, v3
	v_mul_lo_u32 v7, v3, s6
	v_add_u32_e32 v8, 1, v3
	v_sub_u32_e32 v6, v6, v7
	v_subrev_u32_e32 v7, s6, v6
	v_cmp_le_u32_e32 vcc, s6, v6
	v_cndmask_b32_e32 v6, v6, v7, vcc
	v_cndmask_b32_e32 v3, v3, v8, vcc
	v_add_u32_e32 v7, 1, v3
	v_cmp_le_u32_e32 vcc, s6, v6
	v_cndmask_b32_e32 v8, v3, v7, vcc
	s_branch .LBB4_2
.LBB4_11:
	s_endpgm
	.section	.rodata,"a",@progbits
	.p2align	6, 0x0
	.amdhsa_kernel _ZN2at6native16roll_cuda_kernelIsEEvPKT_PS2_llllll
		.amdhsa_group_segment_fixed_size 0
		.amdhsa_private_segment_fixed_size 0
		.amdhsa_kernarg_size 320
		.amdhsa_user_sgpr_count 6
		.amdhsa_user_sgpr_private_segment_buffer 1
		.amdhsa_user_sgpr_dispatch_ptr 0
		.amdhsa_user_sgpr_queue_ptr 0
		.amdhsa_user_sgpr_kernarg_segment_ptr 1
		.amdhsa_user_sgpr_dispatch_id 0
		.amdhsa_user_sgpr_flat_scratch_init 0
		.amdhsa_user_sgpr_private_segment_size 0
		.amdhsa_uses_dynamic_stack 0
		.amdhsa_system_sgpr_private_segment_wavefront_offset 0
		.amdhsa_system_sgpr_workgroup_id_x 1
		.amdhsa_system_sgpr_workgroup_id_y 0
		.amdhsa_system_sgpr_workgroup_id_z 0
		.amdhsa_system_sgpr_workgroup_info 0
		.amdhsa_system_vgpr_workitem_id 0
		.amdhsa_next_free_vgpr 16
		.amdhsa_next_free_sgpr 38
		.amdhsa_reserve_vcc 1
		.amdhsa_reserve_flat_scratch 0
		.amdhsa_float_round_mode_32 0
		.amdhsa_float_round_mode_16_64 0
		.amdhsa_float_denorm_mode_32 3
		.amdhsa_float_denorm_mode_16_64 3
		.amdhsa_dx10_clamp 1
		.amdhsa_ieee_mode 1
		.amdhsa_fp16_overflow 0
		.amdhsa_exception_fp_ieee_invalid_op 0
		.amdhsa_exception_fp_denorm_src 0
		.amdhsa_exception_fp_ieee_div_zero 0
		.amdhsa_exception_fp_ieee_overflow 0
		.amdhsa_exception_fp_ieee_underflow 0
		.amdhsa_exception_fp_ieee_inexact 0
		.amdhsa_exception_int_div_zero 0
	.end_amdhsa_kernel
	.section	.text._ZN2at6native16roll_cuda_kernelIsEEvPKT_PS2_llllll,"axG",@progbits,_ZN2at6native16roll_cuda_kernelIsEEvPKT_PS2_llllll,comdat
.Lfunc_end4:
	.size	_ZN2at6native16roll_cuda_kernelIsEEvPKT_PS2_llllll, .Lfunc_end4-_ZN2at6native16roll_cuda_kernelIsEEvPKT_PS2_llllll
                                        ; -- End function
	.set _ZN2at6native16roll_cuda_kernelIsEEvPKT_PS2_llllll.num_vgpr, 16
	.set _ZN2at6native16roll_cuda_kernelIsEEvPKT_PS2_llllll.num_agpr, 0
	.set _ZN2at6native16roll_cuda_kernelIsEEvPKT_PS2_llllll.numbered_sgpr, 38
	.set _ZN2at6native16roll_cuda_kernelIsEEvPKT_PS2_llllll.num_named_barrier, 0
	.set _ZN2at6native16roll_cuda_kernelIsEEvPKT_PS2_llllll.private_seg_size, 0
	.set _ZN2at6native16roll_cuda_kernelIsEEvPKT_PS2_llllll.uses_vcc, 1
	.set _ZN2at6native16roll_cuda_kernelIsEEvPKT_PS2_llllll.uses_flat_scratch, 0
	.set _ZN2at6native16roll_cuda_kernelIsEEvPKT_PS2_llllll.has_dyn_sized_stack, 0
	.set _ZN2at6native16roll_cuda_kernelIsEEvPKT_PS2_llllll.has_recursion, 0
	.set _ZN2at6native16roll_cuda_kernelIsEEvPKT_PS2_llllll.has_indirect_call, 0
	.section	.AMDGPU.csdata,"",@progbits
; Kernel info:
; codeLenInByte = 1812
; TotalNumSgprs: 42
; NumVgprs: 16
; ScratchSize: 0
; MemoryBound: 0
; FloatMode: 240
; IeeeMode: 1
; LDSByteSize: 0 bytes/workgroup (compile time only)
; SGPRBlocks: 5
; VGPRBlocks: 3
; NumSGPRsForWavesPerEU: 42
; NumVGPRsForWavesPerEU: 16
; Occupancy: 10
; WaveLimiterHint : 0
; COMPUTE_PGM_RSRC2:SCRATCH_EN: 0
; COMPUTE_PGM_RSRC2:USER_SGPR: 6
; COMPUTE_PGM_RSRC2:TRAP_HANDLER: 0
; COMPUTE_PGM_RSRC2:TGID_X_EN: 1
; COMPUTE_PGM_RSRC2:TGID_Y_EN: 0
; COMPUTE_PGM_RSRC2:TGID_Z_EN: 0
; COMPUTE_PGM_RSRC2:TIDIG_COMP_CNT: 0
	.section	.text._ZN2at6native16roll_cuda_kernelIdEEvPKT_PS2_llllll,"axG",@progbits,_ZN2at6native16roll_cuda_kernelIdEEvPKT_PS2_llllll,comdat
	.protected	_ZN2at6native16roll_cuda_kernelIdEEvPKT_PS2_llllll ; -- Begin function _ZN2at6native16roll_cuda_kernelIdEEvPKT_PS2_llllll
	.globl	_ZN2at6native16roll_cuda_kernelIdEEvPKT_PS2_llllll
	.p2align	8
	.type	_ZN2at6native16roll_cuda_kernelIdEEvPKT_PS2_llllll,@function
_ZN2at6native16roll_cuda_kernelIdEEvPKT_PS2_llllll: ; @_ZN2at6native16roll_cuda_kernelIdEEvPKT_PS2_llllll
; %bb.0:
	s_load_dword s2, s[4:5], 0x4c
	s_load_dwordx2 s[12:13], s[4:5], 0x10
	s_add_u32 s0, s4, 64
	v_mov_b32_e32 v2, 0
	s_addc_u32 s1, s5, 0
	s_waitcnt lgkmcnt(0)
	s_and_b32 s2, s2, 0xffff
	v_mov_b32_e32 v1, v2
	v_mov_b32_e32 v3, s6
	v_mad_u64_u32 v[0:1], s[6:7], s2, v3, v[0:1]
	v_cmp_gt_i64_e32 vcc, s[12:13], v[0:1]
	s_and_saveexec_b64 s[6:7], vcc
	s_cbranch_execz .LBB5_11
; %bb.1:
	s_load_dwordx2 s[6:7], s[4:5], 0x30
	s_load_dwordx4 s[16:19], s[4:5], 0x20
	s_load_dwordx4 s[8:11], s[4:5], 0x0
	s_load_dword s3, s[0:1], 0x0
	v_lshlrev_b64 v[4:5], 3, v[0:1]
	s_waitcnt lgkmcnt(0)
	s_mul_i32 s0, s6, s19
	s_mul_hi_u32 s1, s6, s18
	s_add_i32 s0, s1, s0
	s_mul_i32 s1, s7, s18
	s_add_i32 s26, s0, s1
	s_sub_u32 s4, s18, s16
	s_subb_u32 s5, s19, s17
	s_mul_i32 s0, s4, s7
	s_mul_hi_u32 s1, s4, s6
	s_mul_i32 s14, s6, s17
	s_mul_hi_u32 s15, s6, s16
	s_add_i32 s0, s1, s0
	s_mul_i32 s1, s5, s6
	s_add_i32 s14, s15, s14
	s_mul_i32 s15, s7, s16
	;; [unrolled: 2-line block ×4, first 2 shown]
	s_mov_b32 s15, 0
	s_sub_u32 s30, 0, s1
	s_mul_i32 s27, s6, s18
	s_mul_i32 s29, s6, s16
	s_mov_b64 s[16:17], 0
	s_subb_u32 s31, 0, s0
	s_lshl_b64 s[18:19], s[14:15], 3
	s_ashr_i32 s20, s26, 31
	s_branch .LBB5_3
.LBB5_2:                                ;   in Loop: Header=BB5_3 Depth=1
	s_or_b64 exec, exec, s[0:1]
	v_cmp_gt_i64_e32 vcc, s[4:5], v[8:9]
	v_mov_b32_e32 v3, s31
	v_mov_b32_e32 v6, s28
	v_cndmask_b32_e32 v7, v3, v6, vcc
	v_mov_b32_e32 v3, s30
	v_mov_b32_e32 v6, s29
	v_cndmask_b32_e32 v6, v3, v6, vcc
	v_lshlrev_b64 v[6:7], 3, v[6:7]
	v_mov_b32_e32 v8, s9
	v_add_co_u32_e32 v3, vcc, v4, v6
	v_addc_co_u32_e32 v7, vcc, v5, v7, vcc
	v_add_co_u32_e32 v6, vcc, s8, v3
	v_addc_co_u32_e32 v7, vcc, v8, v7, vcc
	global_load_dwordx2 v[6:7], v[6:7], off
	v_add_co_u32_e32 v0, vcc, s14, v0
	v_addc_co_u32_e32 v1, vcc, 0, v1, vcc
	v_cmp_le_i64_e32 vcc, s[12:13], v[0:1]
	v_mov_b32_e32 v3, s11
	v_mov_b32_e32 v10, s19
	v_add_co_u32_e64 v8, s[0:1], s10, v4
	s_or_b64 s[16:17], vcc, s[16:17]
	v_add_co_u32_e32 v4, vcc, s18, v4
	v_addc_co_u32_e64 v9, s[0:1], v3, v5, s[0:1]
	v_addc_co_u32_e32 v5, vcc, v5, v10, vcc
	s_waitcnt vmcnt(0)
	global_store_dwordx2 v[8:9], v[6:7], off
	s_andn2_b64 exec, exec, s[16:17]
	s_cbranch_execz .LBB5_11
.LBB5_3:                                ; =>This Inner Loop Header: Depth=1
	v_or_b32_e32 v3, s26, v1
	v_cmp_ne_u64_e32 vcc, 0, v[2:3]
                                        ; implicit-def: $vgpr6_vgpr7
	s_and_saveexec_b64 s[0:1], vcc
	s_xor_b64 s[22:23], exec, s[0:1]
	s_cbranch_execz .LBB5_5
; %bb.4:                                ;   in Loop: Header=BB5_3 Depth=1
	s_add_u32 s0, s27, s20
	s_mov_b32 s21, s20
	s_addc_u32 s1, s26, s20
	s_xor_b64 s[24:25], s[0:1], s[20:21]
	v_cvt_f32_u32_e32 v3, s24
	v_cvt_f32_u32_e32 v6, s25
	s_sub_u32 s2, 0, s24
	s_subb_u32 s3, 0, s25
	v_mac_f32_e32 v3, 0x4f800000, v6
	v_rcp_f32_e32 v3, v3
	v_mul_f32_e32 v3, 0x5f7ffffc, v3
	v_mul_f32_e32 v6, 0x2f800000, v3
	v_trunc_f32_e32 v6, v6
	v_mac_f32_e32 v3, 0xcf800000, v6
	v_cvt_u32_f32_e32 v6, v6
	v_cvt_u32_f32_e32 v3, v3
	v_readfirstlane_b32 s15, v6
	v_readfirstlane_b32 s0, v3
	s_mul_i32 s1, s2, s15
	s_mul_hi_u32 s33, s2, s0
	s_mul_i32 s21, s3, s0
	s_add_i32 s1, s33, s1
	s_add_i32 s1, s1, s21
	s_mul_i32 s34, s2, s0
	s_mul_i32 s33, s0, s1
	s_mul_hi_u32 s35, s0, s34
	s_mul_hi_u32 s21, s0, s1
	s_add_u32 s33, s35, s33
	s_addc_u32 s21, 0, s21
	s_mul_hi_u32 s36, s15, s34
	s_mul_i32 s34, s15, s34
	s_add_u32 s33, s33, s34
	s_mul_hi_u32 s35, s15, s1
	s_addc_u32 s21, s21, s36
	s_addc_u32 s33, s35, 0
	s_mul_i32 s1, s15, s1
	s_add_u32 s1, s21, s1
	s_addc_u32 s21, 0, s33
	s_add_u32 s33, s0, s1
	s_cselect_b64 s[0:1], -1, 0
	s_cmp_lg_u64 s[0:1], 0
	s_addc_u32 s15, s15, s21
	s_mul_i32 s0, s2, s15
	s_mul_hi_u32 s1, s2, s33
	s_add_i32 s0, s1, s0
	s_mul_i32 s3, s3, s33
	s_add_i32 s0, s0, s3
	s_mul_i32 s2, s2, s33
	s_mul_hi_u32 s3, s15, s2
	s_mul_i32 s21, s15, s2
	s_mul_i32 s35, s33, s0
	s_mul_hi_u32 s2, s33, s2
	s_mul_hi_u32 s34, s33, s0
	s_add_u32 s2, s2, s35
	s_addc_u32 s34, 0, s34
	s_add_u32 s2, s2, s21
	s_mul_hi_u32 s1, s15, s0
	s_addc_u32 s2, s34, s3
	s_addc_u32 s1, s1, 0
	s_mul_i32 s0, s15, s0
	s_add_u32 s0, s2, s0
	s_addc_u32 s2, 0, s1
	s_add_u32 s3, s33, s0
	s_cselect_b64 s[0:1], -1, 0
	v_ashrrev_i32_e32 v3, 31, v1
	s_cmp_lg_u64 s[0:1], 0
	v_add_co_u32_e32 v6, vcc, v0, v3
	s_addc_u32 s2, s15, s2
	v_xor_b32_e32 v10, v6, v3
	v_mad_u64_u32 v[6:7], s[0:1], v10, s2, 0
	v_mul_hi_u32 v9, v10, s3
	v_addc_co_u32_e32 v8, vcc, v1, v3, vcc
	v_xor_b32_e32 v11, v8, v3
	v_add_co_u32_e32 v12, vcc, v9, v6
	v_addc_co_u32_e32 v13, vcc, 0, v7, vcc
	v_mad_u64_u32 v[6:7], s[0:1], v11, s3, 0
	v_mad_u64_u32 v[8:9], s[0:1], v11, s2, 0
	v_add_co_u32_e32 v6, vcc, v12, v6
	v_addc_co_u32_e32 v6, vcc, v13, v7, vcc
	v_addc_co_u32_e32 v7, vcc, 0, v9, vcc
	v_add_co_u32_e32 v6, vcc, v6, v8
	v_addc_co_u32_e32 v7, vcc, 0, v7, vcc
	v_mul_lo_u32 v8, s25, v6
	v_mul_lo_u32 v9, s24, v7
	v_mad_u64_u32 v[6:7], s[0:1], s24, v6, 0
	v_add3_u32 v7, v7, v9, v8
	v_sub_u32_e32 v8, v11, v7
	v_mov_b32_e32 v9, s25
	v_sub_co_u32_e32 v6, vcc, v10, v6
	v_subb_co_u32_e64 v8, s[0:1], v8, v9, vcc
	v_subrev_co_u32_e64 v10, s[0:1], s24, v6
	v_subbrev_co_u32_e64 v12, s[2:3], 0, v8, s[0:1]
	v_cmp_le_u32_e64 s[2:3], s25, v12
	v_cndmask_b32_e64 v13, 0, -1, s[2:3]
	v_cmp_le_u32_e64 s[2:3], s24, v10
	v_subb_co_u32_e64 v8, s[0:1], v8, v9, s[0:1]
	v_cndmask_b32_e64 v14, 0, -1, s[2:3]
	v_cmp_eq_u32_e64 s[2:3], s25, v12
	v_subrev_co_u32_e64 v9, s[0:1], s24, v10
	v_subb_co_u32_e32 v7, vcc, v11, v7, vcc
	v_cndmask_b32_e64 v13, v13, v14, s[2:3]
	v_subbrev_co_u32_e64 v8, s[0:1], 0, v8, s[0:1]
	v_cmp_le_u32_e32 vcc, s25, v7
	v_cmp_ne_u32_e64 s[0:1], 0, v13
	v_cndmask_b32_e64 v11, 0, -1, vcc
	v_cmp_le_u32_e32 vcc, s24, v6
	v_cndmask_b32_e64 v8, v12, v8, s[0:1]
	v_cndmask_b32_e64 v12, 0, -1, vcc
	v_cmp_eq_u32_e32 vcc, s25, v7
	v_cndmask_b32_e32 v11, v11, v12, vcc
	v_cmp_ne_u32_e32 vcc, 0, v11
	v_cndmask_b32_e32 v7, v7, v8, vcc
	v_cndmask_b32_e64 v8, v10, v9, s[0:1]
	v_cndmask_b32_e32 v6, v6, v8, vcc
	v_xor_b32_e32 v6, v6, v3
	v_xor_b32_e32 v7, v7, v3
	v_sub_co_u32_e32 v6, vcc, v6, v3
	v_subb_co_u32_e32 v7, vcc, v7, v3, vcc
.LBB5_5:                                ;   in Loop: Header=BB5_3 Depth=1
	s_andn2_saveexec_b64 s[0:1], s[22:23]
	s_cbranch_execz .LBB5_7
; %bb.6:                                ;   in Loop: Header=BB5_3 Depth=1
	v_cvt_f32_u32_e32 v3, s27
	s_sub_i32 s2, 0, s27
	v_mov_b32_e32 v7, v2
	v_rcp_iflag_f32_e32 v3, v3
	v_mul_f32_e32 v3, 0x4f7ffffe, v3
	v_cvt_u32_f32_e32 v3, v3
	v_mul_lo_u32 v6, s2, v3
	v_mul_hi_u32 v6, v3, v6
	v_add_u32_e32 v3, v3, v6
	v_mul_hi_u32 v3, v0, v3
	v_mul_lo_u32 v3, v3, s27
	v_sub_u32_e32 v3, v0, v3
	v_subrev_u32_e32 v6, s27, v3
	v_cmp_le_u32_e32 vcc, s27, v3
	v_cndmask_b32_e32 v3, v3, v6, vcc
	v_subrev_u32_e32 v6, s27, v3
	v_cmp_le_u32_e32 vcc, s27, v3
	v_cndmask_b32_e32 v6, v3, v6, vcc
.LBB5_7:                                ;   in Loop: Header=BB5_3 Depth=1
	s_or_b64 exec, exec, s[0:1]
	v_or_b32_e32 v3, s7, v7
	v_cmp_ne_u64_e32 vcc, 0, v[2:3]
                                        ; implicit-def: $vgpr8_vgpr9
	s_and_saveexec_b64 s[0:1], vcc
	s_xor_b64 s[2:3], exec, s[0:1]
	s_cbranch_execz .LBB5_9
; %bb.8:                                ;   in Loop: Header=BB5_3 Depth=1
	s_ashr_i32 s22, s7, 31
	s_add_u32 s0, s6, s22
	s_mov_b32 s23, s22
	s_addc_u32 s1, s7, s22
	s_xor_b64 s[24:25], s[0:1], s[22:23]
	v_cvt_f32_u32_e32 v3, s24
	v_cvt_f32_u32_e32 v8, s25
	s_sub_u32 s15, 0, s24
	s_subb_u32 s21, 0, s25
	v_mac_f32_e32 v3, 0x4f800000, v8
	v_rcp_f32_e32 v3, v3
	v_mul_f32_e32 v3, 0x5f7ffffc, v3
	v_mul_f32_e32 v8, 0x2f800000, v3
	v_trunc_f32_e32 v8, v8
	v_mac_f32_e32 v3, 0xcf800000, v8
	v_cvt_u32_f32_e32 v8, v8
	v_cvt_u32_f32_e32 v3, v3
	v_readfirstlane_b32 s23, v8
	v_readfirstlane_b32 s0, v3
	s_mul_i32 s1, s15, s23
	s_mul_hi_u32 s34, s15, s0
	s_mul_i32 s33, s21, s0
	s_add_i32 s1, s34, s1
	s_add_i32 s1, s1, s33
	s_mul_i32 s35, s15, s0
	s_mul_i32 s34, s0, s1
	s_mul_hi_u32 s36, s0, s35
	s_mul_hi_u32 s33, s0, s1
	s_add_u32 s34, s36, s34
	s_addc_u32 s33, 0, s33
	s_mul_hi_u32 s37, s23, s35
	s_mul_i32 s35, s23, s35
	s_add_u32 s34, s34, s35
	s_mul_hi_u32 s36, s23, s1
	s_addc_u32 s33, s33, s37
	s_addc_u32 s34, s36, 0
	s_mul_i32 s1, s23, s1
	s_add_u32 s1, s33, s1
	s_addc_u32 s33, 0, s34
	s_add_u32 s34, s0, s1
	s_cselect_b64 s[0:1], -1, 0
	s_cmp_lg_u64 s[0:1], 0
	s_addc_u32 s23, s23, s33
	s_mul_i32 s0, s15, s23
	s_mul_hi_u32 s1, s15, s34
	s_add_i32 s0, s1, s0
	s_mul_i32 s21, s21, s34
	s_add_i32 s0, s0, s21
	s_mul_i32 s15, s15, s34
	s_mul_hi_u32 s21, s23, s15
	s_mul_i32 s33, s23, s15
	s_mul_i32 s36, s34, s0
	s_mul_hi_u32 s15, s34, s15
	s_mul_hi_u32 s35, s34, s0
	s_add_u32 s15, s15, s36
	s_addc_u32 s35, 0, s35
	s_add_u32 s15, s15, s33
	s_mul_hi_u32 s1, s23, s0
	s_addc_u32 s15, s35, s21
	s_addc_u32 s1, s1, 0
	s_mul_i32 s0, s23, s0
	s_add_u32 s0, s15, s0
	s_addc_u32 s15, 0, s1
	s_add_u32 s21, s34, s0
	s_cselect_b64 s[0:1], -1, 0
	v_ashrrev_i32_e32 v3, 31, v7
	s_cmp_lg_u64 s[0:1], 0
	v_add_co_u32_e32 v6, vcc, v6, v3
	s_addc_u32 s15, s23, s15
	v_xor_b32_e32 v10, v6, v3
	v_addc_co_u32_e32 v8, vcc, v7, v3, vcc
	v_mad_u64_u32 v[6:7], s[0:1], v10, s15, 0
	v_mul_hi_u32 v9, v10, s21
	v_xor_b32_e32 v11, v8, v3
	v_xor_b32_e32 v3, s22, v3
	v_add_co_u32_e32 v12, vcc, v9, v6
	v_addc_co_u32_e32 v13, vcc, 0, v7, vcc
	v_mad_u64_u32 v[6:7], s[0:1], v11, s21, 0
	v_mad_u64_u32 v[8:9], s[0:1], v11, s15, 0
	v_add_co_u32_e32 v6, vcc, v12, v6
	v_addc_co_u32_e32 v6, vcc, v13, v7, vcc
	v_addc_co_u32_e32 v7, vcc, 0, v9, vcc
	v_add_co_u32_e32 v8, vcc, v6, v8
	v_addc_co_u32_e32 v9, vcc, 0, v7, vcc
	v_mul_lo_u32 v12, s25, v8
	v_mul_lo_u32 v13, s24, v9
	v_mad_u64_u32 v[6:7], s[0:1], s24, v8, 0
	v_add3_u32 v7, v7, v13, v12
	v_sub_u32_e32 v12, v11, v7
	v_mov_b32_e32 v13, s25
	v_sub_co_u32_e32 v6, vcc, v10, v6
	v_subb_co_u32_e64 v10, s[0:1], v12, v13, vcc
	v_subrev_co_u32_e64 v12, s[0:1], s24, v6
	v_subbrev_co_u32_e64 v10, s[0:1], 0, v10, s[0:1]
	v_cmp_le_u32_e64 s[0:1], s25, v10
	v_cndmask_b32_e64 v13, 0, -1, s[0:1]
	v_cmp_le_u32_e64 s[0:1], s24, v12
	v_cndmask_b32_e64 v12, 0, -1, s[0:1]
	v_cmp_eq_u32_e64 s[0:1], s25, v10
	v_cndmask_b32_e64 v10, v13, v12, s[0:1]
	v_add_co_u32_e64 v12, s[0:1], 2, v8
	v_subb_co_u32_e32 v7, vcc, v11, v7, vcc
	v_addc_co_u32_e64 v13, s[0:1], 0, v9, s[0:1]
	v_cmp_le_u32_e32 vcc, s25, v7
	v_add_co_u32_e64 v14, s[0:1], 1, v8
	v_cndmask_b32_e64 v11, 0, -1, vcc
	v_cmp_le_u32_e32 vcc, s24, v6
	v_addc_co_u32_e64 v15, s[0:1], 0, v9, s[0:1]
	v_cndmask_b32_e64 v6, 0, -1, vcc
	v_cmp_eq_u32_e32 vcc, s25, v7
	v_cmp_ne_u32_e64 s[0:1], 0, v10
	v_cndmask_b32_e32 v6, v11, v6, vcc
	v_cmp_ne_u32_e32 vcc, 0, v6
	v_cndmask_b32_e64 v7, v14, v12, s[0:1]
	v_cndmask_b32_e64 v10, v15, v13, s[0:1]
	v_cndmask_b32_e32 v7, v8, v7, vcc
	v_cndmask_b32_e32 v6, v9, v10, vcc
	v_xor_b32_e32 v7, v7, v3
	v_xor_b32_e32 v6, v6, v3
	v_sub_co_u32_e32 v8, vcc, v7, v3
	v_subb_co_u32_e32 v9, vcc, v6, v3, vcc
                                        ; implicit-def: $vgpr6_vgpr7
.LBB5_9:                                ;   in Loop: Header=BB5_3 Depth=1
	s_andn2_saveexec_b64 s[0:1], s[2:3]
	s_cbranch_execz .LBB5_2
; %bb.10:                               ;   in Loop: Header=BB5_3 Depth=1
	v_cvt_f32_u32_e32 v3, s6
	s_sub_i32 s2, 0, s6
	v_mov_b32_e32 v9, v2
	v_rcp_iflag_f32_e32 v3, v3
	v_mul_f32_e32 v3, 0x4f7ffffe, v3
	v_cvt_u32_f32_e32 v3, v3
	v_mul_lo_u32 v7, s2, v3
	v_mul_hi_u32 v7, v3, v7
	v_add_u32_e32 v3, v3, v7
	v_mul_hi_u32 v3, v6, v3
	v_mul_lo_u32 v7, v3, s6
	v_add_u32_e32 v8, 1, v3
	v_sub_u32_e32 v6, v6, v7
	v_subrev_u32_e32 v7, s6, v6
	v_cmp_le_u32_e32 vcc, s6, v6
	v_cndmask_b32_e32 v6, v6, v7, vcc
	v_cndmask_b32_e32 v3, v3, v8, vcc
	v_add_u32_e32 v7, 1, v3
	v_cmp_le_u32_e32 vcc, s6, v6
	v_cndmask_b32_e32 v8, v3, v7, vcc
	s_branch .LBB5_2
.LBB5_11:
	s_endpgm
	.section	.rodata,"a",@progbits
	.p2align	6, 0x0
	.amdhsa_kernel _ZN2at6native16roll_cuda_kernelIdEEvPKT_PS2_llllll
		.amdhsa_group_segment_fixed_size 0
		.amdhsa_private_segment_fixed_size 0
		.amdhsa_kernarg_size 320
		.amdhsa_user_sgpr_count 6
		.amdhsa_user_sgpr_private_segment_buffer 1
		.amdhsa_user_sgpr_dispatch_ptr 0
		.amdhsa_user_sgpr_queue_ptr 0
		.amdhsa_user_sgpr_kernarg_segment_ptr 1
		.amdhsa_user_sgpr_dispatch_id 0
		.amdhsa_user_sgpr_flat_scratch_init 0
		.amdhsa_user_sgpr_private_segment_size 0
		.amdhsa_uses_dynamic_stack 0
		.amdhsa_system_sgpr_private_segment_wavefront_offset 0
		.amdhsa_system_sgpr_workgroup_id_x 1
		.amdhsa_system_sgpr_workgroup_id_y 0
		.amdhsa_system_sgpr_workgroup_id_z 0
		.amdhsa_system_sgpr_workgroup_info 0
		.amdhsa_system_vgpr_workitem_id 0
		.amdhsa_next_free_vgpr 16
		.amdhsa_next_free_sgpr 38
		.amdhsa_reserve_vcc 1
		.amdhsa_reserve_flat_scratch 0
		.amdhsa_float_round_mode_32 0
		.amdhsa_float_round_mode_16_64 0
		.amdhsa_float_denorm_mode_32 3
		.amdhsa_float_denorm_mode_16_64 3
		.amdhsa_dx10_clamp 1
		.amdhsa_ieee_mode 1
		.amdhsa_fp16_overflow 0
		.amdhsa_exception_fp_ieee_invalid_op 0
		.amdhsa_exception_fp_denorm_src 0
		.amdhsa_exception_fp_ieee_div_zero 0
		.amdhsa_exception_fp_ieee_overflow 0
		.amdhsa_exception_fp_ieee_underflow 0
		.amdhsa_exception_fp_ieee_inexact 0
		.amdhsa_exception_int_div_zero 0
	.end_amdhsa_kernel
	.section	.text._ZN2at6native16roll_cuda_kernelIdEEvPKT_PS2_llllll,"axG",@progbits,_ZN2at6native16roll_cuda_kernelIdEEvPKT_PS2_llllll,comdat
.Lfunc_end5:
	.size	_ZN2at6native16roll_cuda_kernelIdEEvPKT_PS2_llllll, .Lfunc_end5-_ZN2at6native16roll_cuda_kernelIdEEvPKT_PS2_llllll
                                        ; -- End function
	.set _ZN2at6native16roll_cuda_kernelIdEEvPKT_PS2_llllll.num_vgpr, 16
	.set _ZN2at6native16roll_cuda_kernelIdEEvPKT_PS2_llllll.num_agpr, 0
	.set _ZN2at6native16roll_cuda_kernelIdEEvPKT_PS2_llllll.numbered_sgpr, 38
	.set _ZN2at6native16roll_cuda_kernelIdEEvPKT_PS2_llllll.num_named_barrier, 0
	.set _ZN2at6native16roll_cuda_kernelIdEEvPKT_PS2_llllll.private_seg_size, 0
	.set _ZN2at6native16roll_cuda_kernelIdEEvPKT_PS2_llllll.uses_vcc, 1
	.set _ZN2at6native16roll_cuda_kernelIdEEvPKT_PS2_llllll.uses_flat_scratch, 0
	.set _ZN2at6native16roll_cuda_kernelIdEEvPKT_PS2_llllll.has_dyn_sized_stack, 0
	.set _ZN2at6native16roll_cuda_kernelIdEEvPKT_PS2_llllll.has_recursion, 0
	.set _ZN2at6native16roll_cuda_kernelIdEEvPKT_PS2_llllll.has_indirect_call, 0
	.section	.AMDGPU.csdata,"",@progbits
; Kernel info:
; codeLenInByte = 1812
; TotalNumSgprs: 42
; NumVgprs: 16
; ScratchSize: 0
; MemoryBound: 0
; FloatMode: 240
; IeeeMode: 1
; LDSByteSize: 0 bytes/workgroup (compile time only)
; SGPRBlocks: 5
; VGPRBlocks: 3
; NumSGPRsForWavesPerEU: 42
; NumVGPRsForWavesPerEU: 16
; Occupancy: 10
; WaveLimiterHint : 0
; COMPUTE_PGM_RSRC2:SCRATCH_EN: 0
; COMPUTE_PGM_RSRC2:USER_SGPR: 6
; COMPUTE_PGM_RSRC2:TRAP_HANDLER: 0
; COMPUTE_PGM_RSRC2:TGID_X_EN: 1
; COMPUTE_PGM_RSRC2:TGID_Y_EN: 0
; COMPUTE_PGM_RSRC2:TGID_Z_EN: 0
; COMPUTE_PGM_RSRC2:TIDIG_COMP_CNT: 0
	.section	.text._ZN2at6native16roll_cuda_kernelIfEEvPKT_PS2_llllll,"axG",@progbits,_ZN2at6native16roll_cuda_kernelIfEEvPKT_PS2_llllll,comdat
	.protected	_ZN2at6native16roll_cuda_kernelIfEEvPKT_PS2_llllll ; -- Begin function _ZN2at6native16roll_cuda_kernelIfEEvPKT_PS2_llllll
	.globl	_ZN2at6native16roll_cuda_kernelIfEEvPKT_PS2_llllll
	.p2align	8
	.type	_ZN2at6native16roll_cuda_kernelIfEEvPKT_PS2_llllll,@function
_ZN2at6native16roll_cuda_kernelIfEEvPKT_PS2_llllll: ; @_ZN2at6native16roll_cuda_kernelIfEEvPKT_PS2_llllll
; %bb.0:
	s_load_dword s2, s[4:5], 0x4c
	s_load_dwordx2 s[12:13], s[4:5], 0x10
	s_add_u32 s0, s4, 64
	v_mov_b32_e32 v2, 0
	s_addc_u32 s1, s5, 0
	s_waitcnt lgkmcnt(0)
	s_and_b32 s2, s2, 0xffff
	v_mov_b32_e32 v1, v2
	v_mov_b32_e32 v3, s6
	v_mad_u64_u32 v[0:1], s[6:7], s2, v3, v[0:1]
	v_cmp_gt_i64_e32 vcc, s[12:13], v[0:1]
	s_and_saveexec_b64 s[6:7], vcc
	s_cbranch_execz .LBB6_11
; %bb.1:
	s_load_dwordx2 s[6:7], s[4:5], 0x30
	s_load_dwordx4 s[16:19], s[4:5], 0x20
	s_load_dwordx4 s[8:11], s[4:5], 0x0
	s_load_dword s3, s[0:1], 0x0
	v_lshlrev_b64 v[4:5], 2, v[0:1]
	s_waitcnt lgkmcnt(0)
	s_mul_i32 s0, s6, s19
	s_mul_hi_u32 s1, s6, s18
	s_add_i32 s0, s1, s0
	s_mul_i32 s1, s7, s18
	s_add_i32 s26, s0, s1
	s_sub_u32 s4, s18, s16
	s_subb_u32 s5, s19, s17
	s_mul_i32 s0, s4, s7
	s_mul_hi_u32 s1, s4, s6
	s_mul_i32 s14, s6, s17
	s_mul_hi_u32 s15, s6, s16
	s_add_i32 s0, s1, s0
	s_mul_i32 s1, s5, s6
	s_add_i32 s14, s15, s14
	s_mul_i32 s15, s7, s16
	;; [unrolled: 2-line block ×4, first 2 shown]
	s_mov_b32 s15, 0
	s_sub_u32 s30, 0, s1
	s_mul_i32 s27, s6, s18
	s_mul_i32 s29, s6, s16
	s_mov_b64 s[16:17], 0
	s_subb_u32 s31, 0, s0
	s_lshl_b64 s[18:19], s[14:15], 2
	s_ashr_i32 s20, s26, 31
	s_branch .LBB6_3
.LBB6_2:                                ;   in Loop: Header=BB6_3 Depth=1
	s_or_b64 exec, exec, s[0:1]
	v_cmp_gt_i64_e32 vcc, s[4:5], v[8:9]
	v_mov_b32_e32 v3, s31
	v_mov_b32_e32 v6, s28
	v_cndmask_b32_e32 v7, v3, v6, vcc
	v_mov_b32_e32 v3, s30
	v_mov_b32_e32 v6, s29
	v_cndmask_b32_e32 v6, v3, v6, vcc
	v_lshlrev_b64 v[6:7], 2, v[6:7]
	v_mov_b32_e32 v8, s9
	v_add_co_u32_e32 v3, vcc, v4, v6
	v_addc_co_u32_e32 v7, vcc, v5, v7, vcc
	v_add_co_u32_e32 v6, vcc, s8, v3
	v_addc_co_u32_e32 v7, vcc, v8, v7, vcc
	global_load_dword v3, v[6:7], off
	v_add_co_u32_e32 v0, vcc, s14, v0
	v_addc_co_u32_e32 v1, vcc, 0, v1, vcc
	v_cmp_le_i64_e32 vcc, s[12:13], v[0:1]
	v_mov_b32_e32 v7, s11
	v_mov_b32_e32 v8, s19
	v_add_co_u32_e64 v6, s[0:1], s10, v4
	s_or_b64 s[16:17], vcc, s[16:17]
	v_add_co_u32_e32 v4, vcc, s18, v4
	v_addc_co_u32_e64 v7, s[0:1], v7, v5, s[0:1]
	v_addc_co_u32_e32 v5, vcc, v5, v8, vcc
	s_waitcnt vmcnt(0)
	global_store_dword v[6:7], v3, off
	s_andn2_b64 exec, exec, s[16:17]
	s_cbranch_execz .LBB6_11
.LBB6_3:                                ; =>This Inner Loop Header: Depth=1
	v_or_b32_e32 v3, s26, v1
	v_cmp_ne_u64_e32 vcc, 0, v[2:3]
                                        ; implicit-def: $vgpr6_vgpr7
	s_and_saveexec_b64 s[0:1], vcc
	s_xor_b64 s[22:23], exec, s[0:1]
	s_cbranch_execz .LBB6_5
; %bb.4:                                ;   in Loop: Header=BB6_3 Depth=1
	s_add_u32 s0, s27, s20
	s_mov_b32 s21, s20
	s_addc_u32 s1, s26, s20
	s_xor_b64 s[24:25], s[0:1], s[20:21]
	v_cvt_f32_u32_e32 v3, s24
	v_cvt_f32_u32_e32 v6, s25
	s_sub_u32 s2, 0, s24
	s_subb_u32 s3, 0, s25
	v_mac_f32_e32 v3, 0x4f800000, v6
	v_rcp_f32_e32 v3, v3
	v_mul_f32_e32 v3, 0x5f7ffffc, v3
	v_mul_f32_e32 v6, 0x2f800000, v3
	v_trunc_f32_e32 v6, v6
	v_mac_f32_e32 v3, 0xcf800000, v6
	v_cvt_u32_f32_e32 v6, v6
	v_cvt_u32_f32_e32 v3, v3
	v_readfirstlane_b32 s15, v6
	v_readfirstlane_b32 s0, v3
	s_mul_i32 s1, s2, s15
	s_mul_hi_u32 s33, s2, s0
	s_mul_i32 s21, s3, s0
	s_add_i32 s1, s33, s1
	s_add_i32 s1, s1, s21
	s_mul_i32 s34, s2, s0
	s_mul_i32 s33, s0, s1
	s_mul_hi_u32 s35, s0, s34
	s_mul_hi_u32 s21, s0, s1
	s_add_u32 s33, s35, s33
	s_addc_u32 s21, 0, s21
	s_mul_hi_u32 s36, s15, s34
	s_mul_i32 s34, s15, s34
	s_add_u32 s33, s33, s34
	s_mul_hi_u32 s35, s15, s1
	s_addc_u32 s21, s21, s36
	s_addc_u32 s33, s35, 0
	s_mul_i32 s1, s15, s1
	s_add_u32 s1, s21, s1
	s_addc_u32 s21, 0, s33
	s_add_u32 s33, s0, s1
	s_cselect_b64 s[0:1], -1, 0
	s_cmp_lg_u64 s[0:1], 0
	s_addc_u32 s15, s15, s21
	s_mul_i32 s0, s2, s15
	s_mul_hi_u32 s1, s2, s33
	s_add_i32 s0, s1, s0
	s_mul_i32 s3, s3, s33
	s_add_i32 s0, s0, s3
	s_mul_i32 s2, s2, s33
	s_mul_hi_u32 s3, s15, s2
	s_mul_i32 s21, s15, s2
	s_mul_i32 s35, s33, s0
	s_mul_hi_u32 s2, s33, s2
	s_mul_hi_u32 s34, s33, s0
	s_add_u32 s2, s2, s35
	s_addc_u32 s34, 0, s34
	s_add_u32 s2, s2, s21
	s_mul_hi_u32 s1, s15, s0
	s_addc_u32 s2, s34, s3
	s_addc_u32 s1, s1, 0
	s_mul_i32 s0, s15, s0
	s_add_u32 s0, s2, s0
	s_addc_u32 s2, 0, s1
	s_add_u32 s3, s33, s0
	s_cselect_b64 s[0:1], -1, 0
	v_ashrrev_i32_e32 v3, 31, v1
	s_cmp_lg_u64 s[0:1], 0
	v_add_co_u32_e32 v6, vcc, v0, v3
	s_addc_u32 s2, s15, s2
	v_xor_b32_e32 v10, v6, v3
	v_mad_u64_u32 v[6:7], s[0:1], v10, s2, 0
	v_mul_hi_u32 v9, v10, s3
	v_addc_co_u32_e32 v8, vcc, v1, v3, vcc
	v_xor_b32_e32 v11, v8, v3
	v_add_co_u32_e32 v12, vcc, v9, v6
	v_addc_co_u32_e32 v13, vcc, 0, v7, vcc
	v_mad_u64_u32 v[6:7], s[0:1], v11, s3, 0
	v_mad_u64_u32 v[8:9], s[0:1], v11, s2, 0
	v_add_co_u32_e32 v6, vcc, v12, v6
	v_addc_co_u32_e32 v6, vcc, v13, v7, vcc
	v_addc_co_u32_e32 v7, vcc, 0, v9, vcc
	v_add_co_u32_e32 v6, vcc, v6, v8
	v_addc_co_u32_e32 v7, vcc, 0, v7, vcc
	v_mul_lo_u32 v8, s25, v6
	v_mul_lo_u32 v9, s24, v7
	v_mad_u64_u32 v[6:7], s[0:1], s24, v6, 0
	v_add3_u32 v7, v7, v9, v8
	v_sub_u32_e32 v8, v11, v7
	v_mov_b32_e32 v9, s25
	v_sub_co_u32_e32 v6, vcc, v10, v6
	v_subb_co_u32_e64 v8, s[0:1], v8, v9, vcc
	v_subrev_co_u32_e64 v10, s[0:1], s24, v6
	v_subbrev_co_u32_e64 v12, s[2:3], 0, v8, s[0:1]
	v_cmp_le_u32_e64 s[2:3], s25, v12
	v_cndmask_b32_e64 v13, 0, -1, s[2:3]
	v_cmp_le_u32_e64 s[2:3], s24, v10
	v_subb_co_u32_e64 v8, s[0:1], v8, v9, s[0:1]
	v_cndmask_b32_e64 v14, 0, -1, s[2:3]
	v_cmp_eq_u32_e64 s[2:3], s25, v12
	v_subrev_co_u32_e64 v9, s[0:1], s24, v10
	v_subb_co_u32_e32 v7, vcc, v11, v7, vcc
	v_cndmask_b32_e64 v13, v13, v14, s[2:3]
	v_subbrev_co_u32_e64 v8, s[0:1], 0, v8, s[0:1]
	v_cmp_le_u32_e32 vcc, s25, v7
	v_cmp_ne_u32_e64 s[0:1], 0, v13
	v_cndmask_b32_e64 v11, 0, -1, vcc
	v_cmp_le_u32_e32 vcc, s24, v6
	v_cndmask_b32_e64 v8, v12, v8, s[0:1]
	v_cndmask_b32_e64 v12, 0, -1, vcc
	v_cmp_eq_u32_e32 vcc, s25, v7
	v_cndmask_b32_e32 v11, v11, v12, vcc
	v_cmp_ne_u32_e32 vcc, 0, v11
	v_cndmask_b32_e32 v7, v7, v8, vcc
	v_cndmask_b32_e64 v8, v10, v9, s[0:1]
	v_cndmask_b32_e32 v6, v6, v8, vcc
	v_xor_b32_e32 v6, v6, v3
	v_xor_b32_e32 v7, v7, v3
	v_sub_co_u32_e32 v6, vcc, v6, v3
	v_subb_co_u32_e32 v7, vcc, v7, v3, vcc
.LBB6_5:                                ;   in Loop: Header=BB6_3 Depth=1
	s_andn2_saveexec_b64 s[0:1], s[22:23]
	s_cbranch_execz .LBB6_7
; %bb.6:                                ;   in Loop: Header=BB6_3 Depth=1
	v_cvt_f32_u32_e32 v3, s27
	s_sub_i32 s2, 0, s27
	v_mov_b32_e32 v7, v2
	v_rcp_iflag_f32_e32 v3, v3
	v_mul_f32_e32 v3, 0x4f7ffffe, v3
	v_cvt_u32_f32_e32 v3, v3
	v_mul_lo_u32 v6, s2, v3
	v_mul_hi_u32 v6, v3, v6
	v_add_u32_e32 v3, v3, v6
	v_mul_hi_u32 v3, v0, v3
	v_mul_lo_u32 v3, v3, s27
	v_sub_u32_e32 v3, v0, v3
	v_subrev_u32_e32 v6, s27, v3
	v_cmp_le_u32_e32 vcc, s27, v3
	v_cndmask_b32_e32 v3, v3, v6, vcc
	v_subrev_u32_e32 v6, s27, v3
	v_cmp_le_u32_e32 vcc, s27, v3
	v_cndmask_b32_e32 v6, v3, v6, vcc
.LBB6_7:                                ;   in Loop: Header=BB6_3 Depth=1
	s_or_b64 exec, exec, s[0:1]
	v_or_b32_e32 v3, s7, v7
	v_cmp_ne_u64_e32 vcc, 0, v[2:3]
                                        ; implicit-def: $vgpr8_vgpr9
	s_and_saveexec_b64 s[0:1], vcc
	s_xor_b64 s[2:3], exec, s[0:1]
	s_cbranch_execz .LBB6_9
; %bb.8:                                ;   in Loop: Header=BB6_3 Depth=1
	s_ashr_i32 s22, s7, 31
	s_add_u32 s0, s6, s22
	s_mov_b32 s23, s22
	s_addc_u32 s1, s7, s22
	s_xor_b64 s[24:25], s[0:1], s[22:23]
	v_cvt_f32_u32_e32 v3, s24
	v_cvt_f32_u32_e32 v8, s25
	s_sub_u32 s15, 0, s24
	s_subb_u32 s21, 0, s25
	v_mac_f32_e32 v3, 0x4f800000, v8
	v_rcp_f32_e32 v3, v3
	v_mul_f32_e32 v3, 0x5f7ffffc, v3
	v_mul_f32_e32 v8, 0x2f800000, v3
	v_trunc_f32_e32 v8, v8
	v_mac_f32_e32 v3, 0xcf800000, v8
	v_cvt_u32_f32_e32 v8, v8
	v_cvt_u32_f32_e32 v3, v3
	v_readfirstlane_b32 s23, v8
	v_readfirstlane_b32 s0, v3
	s_mul_i32 s1, s15, s23
	s_mul_hi_u32 s34, s15, s0
	s_mul_i32 s33, s21, s0
	s_add_i32 s1, s34, s1
	s_add_i32 s1, s1, s33
	s_mul_i32 s35, s15, s0
	s_mul_i32 s34, s0, s1
	s_mul_hi_u32 s36, s0, s35
	s_mul_hi_u32 s33, s0, s1
	s_add_u32 s34, s36, s34
	s_addc_u32 s33, 0, s33
	s_mul_hi_u32 s37, s23, s35
	s_mul_i32 s35, s23, s35
	s_add_u32 s34, s34, s35
	s_mul_hi_u32 s36, s23, s1
	s_addc_u32 s33, s33, s37
	s_addc_u32 s34, s36, 0
	s_mul_i32 s1, s23, s1
	s_add_u32 s1, s33, s1
	s_addc_u32 s33, 0, s34
	s_add_u32 s34, s0, s1
	s_cselect_b64 s[0:1], -1, 0
	s_cmp_lg_u64 s[0:1], 0
	s_addc_u32 s23, s23, s33
	s_mul_i32 s0, s15, s23
	s_mul_hi_u32 s1, s15, s34
	s_add_i32 s0, s1, s0
	s_mul_i32 s21, s21, s34
	s_add_i32 s0, s0, s21
	s_mul_i32 s15, s15, s34
	s_mul_hi_u32 s21, s23, s15
	s_mul_i32 s33, s23, s15
	s_mul_i32 s36, s34, s0
	s_mul_hi_u32 s15, s34, s15
	s_mul_hi_u32 s35, s34, s0
	s_add_u32 s15, s15, s36
	s_addc_u32 s35, 0, s35
	s_add_u32 s15, s15, s33
	s_mul_hi_u32 s1, s23, s0
	s_addc_u32 s15, s35, s21
	s_addc_u32 s1, s1, 0
	s_mul_i32 s0, s23, s0
	s_add_u32 s0, s15, s0
	s_addc_u32 s15, 0, s1
	s_add_u32 s21, s34, s0
	s_cselect_b64 s[0:1], -1, 0
	v_ashrrev_i32_e32 v3, 31, v7
	s_cmp_lg_u64 s[0:1], 0
	v_add_co_u32_e32 v6, vcc, v6, v3
	s_addc_u32 s15, s23, s15
	v_xor_b32_e32 v10, v6, v3
	v_addc_co_u32_e32 v8, vcc, v7, v3, vcc
	v_mad_u64_u32 v[6:7], s[0:1], v10, s15, 0
	v_mul_hi_u32 v9, v10, s21
	v_xor_b32_e32 v11, v8, v3
	v_xor_b32_e32 v3, s22, v3
	v_add_co_u32_e32 v12, vcc, v9, v6
	v_addc_co_u32_e32 v13, vcc, 0, v7, vcc
	v_mad_u64_u32 v[6:7], s[0:1], v11, s21, 0
	v_mad_u64_u32 v[8:9], s[0:1], v11, s15, 0
	v_add_co_u32_e32 v6, vcc, v12, v6
	v_addc_co_u32_e32 v6, vcc, v13, v7, vcc
	v_addc_co_u32_e32 v7, vcc, 0, v9, vcc
	v_add_co_u32_e32 v8, vcc, v6, v8
	v_addc_co_u32_e32 v9, vcc, 0, v7, vcc
	v_mul_lo_u32 v12, s25, v8
	v_mul_lo_u32 v13, s24, v9
	v_mad_u64_u32 v[6:7], s[0:1], s24, v8, 0
	v_add3_u32 v7, v7, v13, v12
	v_sub_u32_e32 v12, v11, v7
	v_mov_b32_e32 v13, s25
	v_sub_co_u32_e32 v6, vcc, v10, v6
	v_subb_co_u32_e64 v10, s[0:1], v12, v13, vcc
	v_subrev_co_u32_e64 v12, s[0:1], s24, v6
	v_subbrev_co_u32_e64 v10, s[0:1], 0, v10, s[0:1]
	v_cmp_le_u32_e64 s[0:1], s25, v10
	v_cndmask_b32_e64 v13, 0, -1, s[0:1]
	v_cmp_le_u32_e64 s[0:1], s24, v12
	v_cndmask_b32_e64 v12, 0, -1, s[0:1]
	v_cmp_eq_u32_e64 s[0:1], s25, v10
	v_cndmask_b32_e64 v10, v13, v12, s[0:1]
	v_add_co_u32_e64 v12, s[0:1], 2, v8
	v_subb_co_u32_e32 v7, vcc, v11, v7, vcc
	v_addc_co_u32_e64 v13, s[0:1], 0, v9, s[0:1]
	v_cmp_le_u32_e32 vcc, s25, v7
	v_add_co_u32_e64 v14, s[0:1], 1, v8
	v_cndmask_b32_e64 v11, 0, -1, vcc
	v_cmp_le_u32_e32 vcc, s24, v6
	v_addc_co_u32_e64 v15, s[0:1], 0, v9, s[0:1]
	v_cndmask_b32_e64 v6, 0, -1, vcc
	v_cmp_eq_u32_e32 vcc, s25, v7
	v_cmp_ne_u32_e64 s[0:1], 0, v10
	v_cndmask_b32_e32 v6, v11, v6, vcc
	v_cmp_ne_u32_e32 vcc, 0, v6
	v_cndmask_b32_e64 v7, v14, v12, s[0:1]
	v_cndmask_b32_e64 v10, v15, v13, s[0:1]
	v_cndmask_b32_e32 v7, v8, v7, vcc
	v_cndmask_b32_e32 v6, v9, v10, vcc
	v_xor_b32_e32 v7, v7, v3
	v_xor_b32_e32 v6, v6, v3
	v_sub_co_u32_e32 v8, vcc, v7, v3
	v_subb_co_u32_e32 v9, vcc, v6, v3, vcc
                                        ; implicit-def: $vgpr6_vgpr7
.LBB6_9:                                ;   in Loop: Header=BB6_3 Depth=1
	s_andn2_saveexec_b64 s[0:1], s[2:3]
	s_cbranch_execz .LBB6_2
; %bb.10:                               ;   in Loop: Header=BB6_3 Depth=1
	v_cvt_f32_u32_e32 v3, s6
	s_sub_i32 s2, 0, s6
	v_mov_b32_e32 v9, v2
	v_rcp_iflag_f32_e32 v3, v3
	v_mul_f32_e32 v3, 0x4f7ffffe, v3
	v_cvt_u32_f32_e32 v3, v3
	v_mul_lo_u32 v7, s2, v3
	v_mul_hi_u32 v7, v3, v7
	v_add_u32_e32 v3, v3, v7
	v_mul_hi_u32 v3, v6, v3
	v_mul_lo_u32 v7, v3, s6
	v_add_u32_e32 v8, 1, v3
	v_sub_u32_e32 v6, v6, v7
	v_subrev_u32_e32 v7, s6, v6
	v_cmp_le_u32_e32 vcc, s6, v6
	v_cndmask_b32_e32 v6, v6, v7, vcc
	v_cndmask_b32_e32 v3, v3, v8, vcc
	v_add_u32_e32 v7, 1, v3
	v_cmp_le_u32_e32 vcc, s6, v6
	v_cndmask_b32_e32 v8, v3, v7, vcc
	s_branch .LBB6_2
.LBB6_11:
	s_endpgm
	.section	.rodata,"a",@progbits
	.p2align	6, 0x0
	.amdhsa_kernel _ZN2at6native16roll_cuda_kernelIfEEvPKT_PS2_llllll
		.amdhsa_group_segment_fixed_size 0
		.amdhsa_private_segment_fixed_size 0
		.amdhsa_kernarg_size 320
		.amdhsa_user_sgpr_count 6
		.amdhsa_user_sgpr_private_segment_buffer 1
		.amdhsa_user_sgpr_dispatch_ptr 0
		.amdhsa_user_sgpr_queue_ptr 0
		.amdhsa_user_sgpr_kernarg_segment_ptr 1
		.amdhsa_user_sgpr_dispatch_id 0
		.amdhsa_user_sgpr_flat_scratch_init 0
		.amdhsa_user_sgpr_private_segment_size 0
		.amdhsa_uses_dynamic_stack 0
		.amdhsa_system_sgpr_private_segment_wavefront_offset 0
		.amdhsa_system_sgpr_workgroup_id_x 1
		.amdhsa_system_sgpr_workgroup_id_y 0
		.amdhsa_system_sgpr_workgroup_id_z 0
		.amdhsa_system_sgpr_workgroup_info 0
		.amdhsa_system_vgpr_workitem_id 0
		.amdhsa_next_free_vgpr 16
		.amdhsa_next_free_sgpr 38
		.amdhsa_reserve_vcc 1
		.amdhsa_reserve_flat_scratch 0
		.amdhsa_float_round_mode_32 0
		.amdhsa_float_round_mode_16_64 0
		.amdhsa_float_denorm_mode_32 3
		.amdhsa_float_denorm_mode_16_64 3
		.amdhsa_dx10_clamp 1
		.amdhsa_ieee_mode 1
		.amdhsa_fp16_overflow 0
		.amdhsa_exception_fp_ieee_invalid_op 0
		.amdhsa_exception_fp_denorm_src 0
		.amdhsa_exception_fp_ieee_div_zero 0
		.amdhsa_exception_fp_ieee_overflow 0
		.amdhsa_exception_fp_ieee_underflow 0
		.amdhsa_exception_fp_ieee_inexact 0
		.amdhsa_exception_int_div_zero 0
	.end_amdhsa_kernel
	.section	.text._ZN2at6native16roll_cuda_kernelIfEEvPKT_PS2_llllll,"axG",@progbits,_ZN2at6native16roll_cuda_kernelIfEEvPKT_PS2_llllll,comdat
.Lfunc_end6:
	.size	_ZN2at6native16roll_cuda_kernelIfEEvPKT_PS2_llllll, .Lfunc_end6-_ZN2at6native16roll_cuda_kernelIfEEvPKT_PS2_llllll
                                        ; -- End function
	.set _ZN2at6native16roll_cuda_kernelIfEEvPKT_PS2_llllll.num_vgpr, 16
	.set _ZN2at6native16roll_cuda_kernelIfEEvPKT_PS2_llllll.num_agpr, 0
	.set _ZN2at6native16roll_cuda_kernelIfEEvPKT_PS2_llllll.numbered_sgpr, 38
	.set _ZN2at6native16roll_cuda_kernelIfEEvPKT_PS2_llllll.num_named_barrier, 0
	.set _ZN2at6native16roll_cuda_kernelIfEEvPKT_PS2_llllll.private_seg_size, 0
	.set _ZN2at6native16roll_cuda_kernelIfEEvPKT_PS2_llllll.uses_vcc, 1
	.set _ZN2at6native16roll_cuda_kernelIfEEvPKT_PS2_llllll.uses_flat_scratch, 0
	.set _ZN2at6native16roll_cuda_kernelIfEEvPKT_PS2_llllll.has_dyn_sized_stack, 0
	.set _ZN2at6native16roll_cuda_kernelIfEEvPKT_PS2_llllll.has_recursion, 0
	.set _ZN2at6native16roll_cuda_kernelIfEEvPKT_PS2_llllll.has_indirect_call, 0
	.section	.AMDGPU.csdata,"",@progbits
; Kernel info:
; codeLenInByte = 1812
; TotalNumSgprs: 42
; NumVgprs: 16
; ScratchSize: 0
; MemoryBound: 0
; FloatMode: 240
; IeeeMode: 1
; LDSByteSize: 0 bytes/workgroup (compile time only)
; SGPRBlocks: 5
; VGPRBlocks: 3
; NumSGPRsForWavesPerEU: 42
; NumVGPRsForWavesPerEU: 16
; Occupancy: 10
; WaveLimiterHint : 0
; COMPUTE_PGM_RSRC2:SCRATCH_EN: 0
; COMPUTE_PGM_RSRC2:USER_SGPR: 6
; COMPUTE_PGM_RSRC2:TRAP_HANDLER: 0
; COMPUTE_PGM_RSRC2:TGID_X_EN: 1
; COMPUTE_PGM_RSRC2:TGID_Y_EN: 0
; COMPUTE_PGM_RSRC2:TGID_Z_EN: 0
; COMPUTE_PGM_RSRC2:TIDIG_COMP_CNT: 0
	.section	.text._ZN2at6native16roll_cuda_kernelIN3c107complexIdEEEEvPKT_PS5_llllll,"axG",@progbits,_ZN2at6native16roll_cuda_kernelIN3c107complexIdEEEEvPKT_PS5_llllll,comdat
	.protected	_ZN2at6native16roll_cuda_kernelIN3c107complexIdEEEEvPKT_PS5_llllll ; -- Begin function _ZN2at6native16roll_cuda_kernelIN3c107complexIdEEEEvPKT_PS5_llllll
	.globl	_ZN2at6native16roll_cuda_kernelIN3c107complexIdEEEEvPKT_PS5_llllll
	.p2align	8
	.type	_ZN2at6native16roll_cuda_kernelIN3c107complexIdEEEEvPKT_PS5_llllll,@function
_ZN2at6native16roll_cuda_kernelIN3c107complexIdEEEEvPKT_PS5_llllll: ; @_ZN2at6native16roll_cuda_kernelIN3c107complexIdEEEEvPKT_PS5_llllll
; %bb.0:
	s_load_dword s2, s[4:5], 0x4c
	s_load_dwordx2 s[12:13], s[4:5], 0x10
	s_add_u32 s0, s4, 64
	v_mov_b32_e32 v2, 0
	s_addc_u32 s1, s5, 0
	s_waitcnt lgkmcnt(0)
	s_and_b32 s2, s2, 0xffff
	v_mov_b32_e32 v1, v2
	v_mov_b32_e32 v3, s6
	v_mad_u64_u32 v[0:1], s[6:7], s2, v3, v[0:1]
	v_cmp_gt_i64_e32 vcc, s[12:13], v[0:1]
	s_and_saveexec_b64 s[6:7], vcc
	s_cbranch_execz .LBB7_11
; %bb.1:
	s_load_dwordx2 s[6:7], s[4:5], 0x30
	s_load_dwordx4 s[16:19], s[4:5], 0x20
	s_load_dwordx4 s[8:11], s[4:5], 0x0
	s_load_dword s3, s[0:1], 0x0
	v_lshlrev_b64 v[4:5], 4, v[0:1]
	s_waitcnt lgkmcnt(0)
	s_mul_i32 s0, s6, s19
	s_mul_hi_u32 s1, s6, s18
	s_add_i32 s0, s1, s0
	s_mul_i32 s1, s7, s18
	s_add_i32 s26, s0, s1
	s_sub_u32 s4, s18, s16
	s_subb_u32 s5, s19, s17
	s_mul_i32 s0, s4, s7
	s_mul_hi_u32 s1, s4, s6
	s_mul_i32 s14, s6, s17
	s_mul_hi_u32 s15, s6, s16
	s_add_i32 s0, s1, s0
	s_mul_i32 s1, s5, s6
	s_add_i32 s14, s15, s14
	s_mul_i32 s15, s7, s16
	;; [unrolled: 2-line block ×4, first 2 shown]
	s_mov_b32 s15, 0
	s_sub_u32 s30, 0, s1
	s_mul_i32 s27, s6, s18
	s_mul_i32 s29, s6, s16
	s_mov_b64 s[16:17], 0
	s_subb_u32 s31, 0, s0
	s_lshl_b64 s[18:19], s[14:15], 4
	s_ashr_i32 s20, s26, 31
	s_branch .LBB7_3
.LBB7_2:                                ;   in Loop: Header=BB7_3 Depth=1
	s_or_b64 exec, exec, s[0:1]
	v_cmp_gt_i64_e32 vcc, s[4:5], v[8:9]
	v_mov_b32_e32 v3, s31
	v_mov_b32_e32 v6, s28
	v_cndmask_b32_e32 v7, v3, v6, vcc
	v_mov_b32_e32 v3, s30
	v_mov_b32_e32 v6, s29
	v_cndmask_b32_e32 v6, v3, v6, vcc
	v_lshlrev_b64 v[6:7], 4, v[6:7]
	v_mov_b32_e32 v8, s9
	v_add_co_u32_e32 v3, vcc, v4, v6
	v_addc_co_u32_e32 v7, vcc, v5, v7, vcc
	v_add_co_u32_e32 v6, vcc, s8, v3
	v_addc_co_u32_e32 v7, vcc, v8, v7, vcc
	global_load_dwordx4 v[6:9], v[6:7], off
	v_add_co_u32_e32 v0, vcc, s14, v0
	v_addc_co_u32_e32 v1, vcc, 0, v1, vcc
	v_cmp_le_i64_e32 vcc, s[12:13], v[0:1]
	v_mov_b32_e32 v3, s11
	v_mov_b32_e32 v12, s19
	v_add_co_u32_e64 v10, s[0:1], s10, v4
	s_or_b64 s[16:17], vcc, s[16:17]
	v_add_co_u32_e32 v4, vcc, s18, v4
	v_addc_co_u32_e64 v11, s[0:1], v3, v5, s[0:1]
	v_addc_co_u32_e32 v5, vcc, v5, v12, vcc
	s_waitcnt vmcnt(0)
	global_store_dwordx4 v[10:11], v[6:9], off
	s_andn2_b64 exec, exec, s[16:17]
	s_cbranch_execz .LBB7_11
.LBB7_3:                                ; =>This Inner Loop Header: Depth=1
	v_or_b32_e32 v3, s26, v1
	v_cmp_ne_u64_e32 vcc, 0, v[2:3]
                                        ; implicit-def: $vgpr6_vgpr7
	s_and_saveexec_b64 s[0:1], vcc
	s_xor_b64 s[22:23], exec, s[0:1]
	s_cbranch_execz .LBB7_5
; %bb.4:                                ;   in Loop: Header=BB7_3 Depth=1
	s_add_u32 s0, s27, s20
	s_mov_b32 s21, s20
	s_addc_u32 s1, s26, s20
	s_xor_b64 s[24:25], s[0:1], s[20:21]
	v_cvt_f32_u32_e32 v3, s24
	v_cvt_f32_u32_e32 v6, s25
	s_sub_u32 s2, 0, s24
	s_subb_u32 s3, 0, s25
	v_mac_f32_e32 v3, 0x4f800000, v6
	v_rcp_f32_e32 v3, v3
	v_mul_f32_e32 v3, 0x5f7ffffc, v3
	v_mul_f32_e32 v6, 0x2f800000, v3
	v_trunc_f32_e32 v6, v6
	v_mac_f32_e32 v3, 0xcf800000, v6
	v_cvt_u32_f32_e32 v6, v6
	v_cvt_u32_f32_e32 v3, v3
	v_readfirstlane_b32 s15, v6
	v_readfirstlane_b32 s0, v3
	s_mul_i32 s1, s2, s15
	s_mul_hi_u32 s33, s2, s0
	s_mul_i32 s21, s3, s0
	s_add_i32 s1, s33, s1
	s_add_i32 s1, s1, s21
	s_mul_i32 s34, s2, s0
	s_mul_i32 s33, s0, s1
	s_mul_hi_u32 s35, s0, s34
	s_mul_hi_u32 s21, s0, s1
	s_add_u32 s33, s35, s33
	s_addc_u32 s21, 0, s21
	s_mul_hi_u32 s36, s15, s34
	s_mul_i32 s34, s15, s34
	s_add_u32 s33, s33, s34
	s_mul_hi_u32 s35, s15, s1
	s_addc_u32 s21, s21, s36
	s_addc_u32 s33, s35, 0
	s_mul_i32 s1, s15, s1
	s_add_u32 s1, s21, s1
	s_addc_u32 s21, 0, s33
	s_add_u32 s33, s0, s1
	s_cselect_b64 s[0:1], -1, 0
	s_cmp_lg_u64 s[0:1], 0
	s_addc_u32 s15, s15, s21
	s_mul_i32 s0, s2, s15
	s_mul_hi_u32 s1, s2, s33
	s_add_i32 s0, s1, s0
	s_mul_i32 s3, s3, s33
	s_add_i32 s0, s0, s3
	s_mul_i32 s2, s2, s33
	s_mul_hi_u32 s3, s15, s2
	s_mul_i32 s21, s15, s2
	s_mul_i32 s35, s33, s0
	s_mul_hi_u32 s2, s33, s2
	s_mul_hi_u32 s34, s33, s0
	s_add_u32 s2, s2, s35
	s_addc_u32 s34, 0, s34
	s_add_u32 s2, s2, s21
	s_mul_hi_u32 s1, s15, s0
	s_addc_u32 s2, s34, s3
	s_addc_u32 s1, s1, 0
	s_mul_i32 s0, s15, s0
	s_add_u32 s0, s2, s0
	s_addc_u32 s2, 0, s1
	s_add_u32 s3, s33, s0
	s_cselect_b64 s[0:1], -1, 0
	v_ashrrev_i32_e32 v3, 31, v1
	s_cmp_lg_u64 s[0:1], 0
	v_add_co_u32_e32 v6, vcc, v0, v3
	s_addc_u32 s2, s15, s2
	v_xor_b32_e32 v10, v6, v3
	v_mad_u64_u32 v[6:7], s[0:1], v10, s2, 0
	v_mul_hi_u32 v9, v10, s3
	v_addc_co_u32_e32 v8, vcc, v1, v3, vcc
	v_xor_b32_e32 v11, v8, v3
	v_add_co_u32_e32 v12, vcc, v9, v6
	v_addc_co_u32_e32 v13, vcc, 0, v7, vcc
	v_mad_u64_u32 v[6:7], s[0:1], v11, s3, 0
	v_mad_u64_u32 v[8:9], s[0:1], v11, s2, 0
	v_add_co_u32_e32 v6, vcc, v12, v6
	v_addc_co_u32_e32 v6, vcc, v13, v7, vcc
	v_addc_co_u32_e32 v7, vcc, 0, v9, vcc
	v_add_co_u32_e32 v6, vcc, v6, v8
	v_addc_co_u32_e32 v7, vcc, 0, v7, vcc
	v_mul_lo_u32 v8, s25, v6
	v_mul_lo_u32 v9, s24, v7
	v_mad_u64_u32 v[6:7], s[0:1], s24, v6, 0
	v_add3_u32 v7, v7, v9, v8
	v_sub_u32_e32 v8, v11, v7
	v_mov_b32_e32 v9, s25
	v_sub_co_u32_e32 v6, vcc, v10, v6
	v_subb_co_u32_e64 v8, s[0:1], v8, v9, vcc
	v_subrev_co_u32_e64 v10, s[0:1], s24, v6
	v_subbrev_co_u32_e64 v12, s[2:3], 0, v8, s[0:1]
	v_cmp_le_u32_e64 s[2:3], s25, v12
	v_cndmask_b32_e64 v13, 0, -1, s[2:3]
	v_cmp_le_u32_e64 s[2:3], s24, v10
	v_subb_co_u32_e64 v8, s[0:1], v8, v9, s[0:1]
	v_cndmask_b32_e64 v14, 0, -1, s[2:3]
	v_cmp_eq_u32_e64 s[2:3], s25, v12
	v_subrev_co_u32_e64 v9, s[0:1], s24, v10
	v_subb_co_u32_e32 v7, vcc, v11, v7, vcc
	v_cndmask_b32_e64 v13, v13, v14, s[2:3]
	v_subbrev_co_u32_e64 v8, s[0:1], 0, v8, s[0:1]
	v_cmp_le_u32_e32 vcc, s25, v7
	v_cmp_ne_u32_e64 s[0:1], 0, v13
	v_cndmask_b32_e64 v11, 0, -1, vcc
	v_cmp_le_u32_e32 vcc, s24, v6
	v_cndmask_b32_e64 v8, v12, v8, s[0:1]
	v_cndmask_b32_e64 v12, 0, -1, vcc
	v_cmp_eq_u32_e32 vcc, s25, v7
	v_cndmask_b32_e32 v11, v11, v12, vcc
	v_cmp_ne_u32_e32 vcc, 0, v11
	v_cndmask_b32_e32 v7, v7, v8, vcc
	v_cndmask_b32_e64 v8, v10, v9, s[0:1]
	v_cndmask_b32_e32 v6, v6, v8, vcc
	v_xor_b32_e32 v6, v6, v3
	v_xor_b32_e32 v7, v7, v3
	v_sub_co_u32_e32 v6, vcc, v6, v3
	v_subb_co_u32_e32 v7, vcc, v7, v3, vcc
.LBB7_5:                                ;   in Loop: Header=BB7_3 Depth=1
	s_andn2_saveexec_b64 s[0:1], s[22:23]
	s_cbranch_execz .LBB7_7
; %bb.6:                                ;   in Loop: Header=BB7_3 Depth=1
	v_cvt_f32_u32_e32 v3, s27
	s_sub_i32 s2, 0, s27
	v_mov_b32_e32 v7, v2
	v_rcp_iflag_f32_e32 v3, v3
	v_mul_f32_e32 v3, 0x4f7ffffe, v3
	v_cvt_u32_f32_e32 v3, v3
	v_mul_lo_u32 v6, s2, v3
	v_mul_hi_u32 v6, v3, v6
	v_add_u32_e32 v3, v3, v6
	v_mul_hi_u32 v3, v0, v3
	v_mul_lo_u32 v3, v3, s27
	v_sub_u32_e32 v3, v0, v3
	v_subrev_u32_e32 v6, s27, v3
	v_cmp_le_u32_e32 vcc, s27, v3
	v_cndmask_b32_e32 v3, v3, v6, vcc
	v_subrev_u32_e32 v6, s27, v3
	v_cmp_le_u32_e32 vcc, s27, v3
	v_cndmask_b32_e32 v6, v3, v6, vcc
.LBB7_7:                                ;   in Loop: Header=BB7_3 Depth=1
	s_or_b64 exec, exec, s[0:1]
	v_or_b32_e32 v3, s7, v7
	v_cmp_ne_u64_e32 vcc, 0, v[2:3]
                                        ; implicit-def: $vgpr8_vgpr9
	s_and_saveexec_b64 s[0:1], vcc
	s_xor_b64 s[2:3], exec, s[0:1]
	s_cbranch_execz .LBB7_9
; %bb.8:                                ;   in Loop: Header=BB7_3 Depth=1
	s_ashr_i32 s22, s7, 31
	s_add_u32 s0, s6, s22
	s_mov_b32 s23, s22
	s_addc_u32 s1, s7, s22
	s_xor_b64 s[24:25], s[0:1], s[22:23]
	v_cvt_f32_u32_e32 v3, s24
	v_cvt_f32_u32_e32 v8, s25
	s_sub_u32 s15, 0, s24
	s_subb_u32 s21, 0, s25
	v_mac_f32_e32 v3, 0x4f800000, v8
	v_rcp_f32_e32 v3, v3
	v_mul_f32_e32 v3, 0x5f7ffffc, v3
	v_mul_f32_e32 v8, 0x2f800000, v3
	v_trunc_f32_e32 v8, v8
	v_mac_f32_e32 v3, 0xcf800000, v8
	v_cvt_u32_f32_e32 v8, v8
	v_cvt_u32_f32_e32 v3, v3
	v_readfirstlane_b32 s23, v8
	v_readfirstlane_b32 s0, v3
	s_mul_i32 s1, s15, s23
	s_mul_hi_u32 s34, s15, s0
	s_mul_i32 s33, s21, s0
	s_add_i32 s1, s34, s1
	s_add_i32 s1, s1, s33
	s_mul_i32 s35, s15, s0
	s_mul_i32 s34, s0, s1
	s_mul_hi_u32 s36, s0, s35
	s_mul_hi_u32 s33, s0, s1
	s_add_u32 s34, s36, s34
	s_addc_u32 s33, 0, s33
	s_mul_hi_u32 s37, s23, s35
	s_mul_i32 s35, s23, s35
	s_add_u32 s34, s34, s35
	s_mul_hi_u32 s36, s23, s1
	s_addc_u32 s33, s33, s37
	s_addc_u32 s34, s36, 0
	s_mul_i32 s1, s23, s1
	s_add_u32 s1, s33, s1
	s_addc_u32 s33, 0, s34
	s_add_u32 s34, s0, s1
	s_cselect_b64 s[0:1], -1, 0
	s_cmp_lg_u64 s[0:1], 0
	s_addc_u32 s23, s23, s33
	s_mul_i32 s0, s15, s23
	s_mul_hi_u32 s1, s15, s34
	s_add_i32 s0, s1, s0
	s_mul_i32 s21, s21, s34
	s_add_i32 s0, s0, s21
	s_mul_i32 s15, s15, s34
	s_mul_hi_u32 s21, s23, s15
	s_mul_i32 s33, s23, s15
	s_mul_i32 s36, s34, s0
	s_mul_hi_u32 s15, s34, s15
	s_mul_hi_u32 s35, s34, s0
	s_add_u32 s15, s15, s36
	s_addc_u32 s35, 0, s35
	s_add_u32 s15, s15, s33
	s_mul_hi_u32 s1, s23, s0
	s_addc_u32 s15, s35, s21
	s_addc_u32 s1, s1, 0
	s_mul_i32 s0, s23, s0
	s_add_u32 s0, s15, s0
	s_addc_u32 s15, 0, s1
	s_add_u32 s21, s34, s0
	s_cselect_b64 s[0:1], -1, 0
	v_ashrrev_i32_e32 v3, 31, v7
	s_cmp_lg_u64 s[0:1], 0
	v_add_co_u32_e32 v6, vcc, v6, v3
	s_addc_u32 s15, s23, s15
	v_xor_b32_e32 v10, v6, v3
	v_addc_co_u32_e32 v8, vcc, v7, v3, vcc
	v_mad_u64_u32 v[6:7], s[0:1], v10, s15, 0
	v_mul_hi_u32 v9, v10, s21
	v_xor_b32_e32 v11, v8, v3
	v_xor_b32_e32 v3, s22, v3
	v_add_co_u32_e32 v12, vcc, v9, v6
	v_addc_co_u32_e32 v13, vcc, 0, v7, vcc
	v_mad_u64_u32 v[6:7], s[0:1], v11, s21, 0
	v_mad_u64_u32 v[8:9], s[0:1], v11, s15, 0
	v_add_co_u32_e32 v6, vcc, v12, v6
	v_addc_co_u32_e32 v6, vcc, v13, v7, vcc
	v_addc_co_u32_e32 v7, vcc, 0, v9, vcc
	v_add_co_u32_e32 v8, vcc, v6, v8
	v_addc_co_u32_e32 v9, vcc, 0, v7, vcc
	v_mul_lo_u32 v12, s25, v8
	v_mul_lo_u32 v13, s24, v9
	v_mad_u64_u32 v[6:7], s[0:1], s24, v8, 0
	v_add3_u32 v7, v7, v13, v12
	v_sub_u32_e32 v12, v11, v7
	v_mov_b32_e32 v13, s25
	v_sub_co_u32_e32 v6, vcc, v10, v6
	v_subb_co_u32_e64 v10, s[0:1], v12, v13, vcc
	v_subrev_co_u32_e64 v12, s[0:1], s24, v6
	v_subbrev_co_u32_e64 v10, s[0:1], 0, v10, s[0:1]
	v_cmp_le_u32_e64 s[0:1], s25, v10
	v_cndmask_b32_e64 v13, 0, -1, s[0:1]
	v_cmp_le_u32_e64 s[0:1], s24, v12
	v_cndmask_b32_e64 v12, 0, -1, s[0:1]
	v_cmp_eq_u32_e64 s[0:1], s25, v10
	v_cndmask_b32_e64 v10, v13, v12, s[0:1]
	v_add_co_u32_e64 v12, s[0:1], 2, v8
	v_subb_co_u32_e32 v7, vcc, v11, v7, vcc
	v_addc_co_u32_e64 v13, s[0:1], 0, v9, s[0:1]
	v_cmp_le_u32_e32 vcc, s25, v7
	v_add_co_u32_e64 v14, s[0:1], 1, v8
	v_cndmask_b32_e64 v11, 0, -1, vcc
	v_cmp_le_u32_e32 vcc, s24, v6
	v_addc_co_u32_e64 v15, s[0:1], 0, v9, s[0:1]
	v_cndmask_b32_e64 v6, 0, -1, vcc
	v_cmp_eq_u32_e32 vcc, s25, v7
	v_cmp_ne_u32_e64 s[0:1], 0, v10
	v_cndmask_b32_e32 v6, v11, v6, vcc
	v_cmp_ne_u32_e32 vcc, 0, v6
	v_cndmask_b32_e64 v7, v14, v12, s[0:1]
	v_cndmask_b32_e64 v10, v15, v13, s[0:1]
	v_cndmask_b32_e32 v7, v8, v7, vcc
	v_cndmask_b32_e32 v6, v9, v10, vcc
	v_xor_b32_e32 v7, v7, v3
	v_xor_b32_e32 v6, v6, v3
	v_sub_co_u32_e32 v8, vcc, v7, v3
	v_subb_co_u32_e32 v9, vcc, v6, v3, vcc
                                        ; implicit-def: $vgpr6_vgpr7
.LBB7_9:                                ;   in Loop: Header=BB7_3 Depth=1
	s_andn2_saveexec_b64 s[0:1], s[2:3]
	s_cbranch_execz .LBB7_2
; %bb.10:                               ;   in Loop: Header=BB7_3 Depth=1
	v_cvt_f32_u32_e32 v3, s6
	s_sub_i32 s2, 0, s6
	v_mov_b32_e32 v9, v2
	v_rcp_iflag_f32_e32 v3, v3
	v_mul_f32_e32 v3, 0x4f7ffffe, v3
	v_cvt_u32_f32_e32 v3, v3
	v_mul_lo_u32 v7, s2, v3
	v_mul_hi_u32 v7, v3, v7
	v_add_u32_e32 v3, v3, v7
	v_mul_hi_u32 v3, v6, v3
	v_mul_lo_u32 v7, v3, s6
	v_add_u32_e32 v8, 1, v3
	v_sub_u32_e32 v6, v6, v7
	v_subrev_u32_e32 v7, s6, v6
	v_cmp_le_u32_e32 vcc, s6, v6
	v_cndmask_b32_e32 v6, v6, v7, vcc
	v_cndmask_b32_e32 v3, v3, v8, vcc
	v_add_u32_e32 v7, 1, v3
	v_cmp_le_u32_e32 vcc, s6, v6
	v_cndmask_b32_e32 v8, v3, v7, vcc
	s_branch .LBB7_2
.LBB7_11:
	s_endpgm
	.section	.rodata,"a",@progbits
	.p2align	6, 0x0
	.amdhsa_kernel _ZN2at6native16roll_cuda_kernelIN3c107complexIdEEEEvPKT_PS5_llllll
		.amdhsa_group_segment_fixed_size 0
		.amdhsa_private_segment_fixed_size 0
		.amdhsa_kernarg_size 320
		.amdhsa_user_sgpr_count 6
		.amdhsa_user_sgpr_private_segment_buffer 1
		.amdhsa_user_sgpr_dispatch_ptr 0
		.amdhsa_user_sgpr_queue_ptr 0
		.amdhsa_user_sgpr_kernarg_segment_ptr 1
		.amdhsa_user_sgpr_dispatch_id 0
		.amdhsa_user_sgpr_flat_scratch_init 0
		.amdhsa_user_sgpr_private_segment_size 0
		.amdhsa_uses_dynamic_stack 0
		.amdhsa_system_sgpr_private_segment_wavefront_offset 0
		.amdhsa_system_sgpr_workgroup_id_x 1
		.amdhsa_system_sgpr_workgroup_id_y 0
		.amdhsa_system_sgpr_workgroup_id_z 0
		.amdhsa_system_sgpr_workgroup_info 0
		.amdhsa_system_vgpr_workitem_id 0
		.amdhsa_next_free_vgpr 16
		.amdhsa_next_free_sgpr 38
		.amdhsa_reserve_vcc 1
		.amdhsa_reserve_flat_scratch 0
		.amdhsa_float_round_mode_32 0
		.amdhsa_float_round_mode_16_64 0
		.amdhsa_float_denorm_mode_32 3
		.amdhsa_float_denorm_mode_16_64 3
		.amdhsa_dx10_clamp 1
		.amdhsa_ieee_mode 1
		.amdhsa_fp16_overflow 0
		.amdhsa_exception_fp_ieee_invalid_op 0
		.amdhsa_exception_fp_denorm_src 0
		.amdhsa_exception_fp_ieee_div_zero 0
		.amdhsa_exception_fp_ieee_overflow 0
		.amdhsa_exception_fp_ieee_underflow 0
		.amdhsa_exception_fp_ieee_inexact 0
		.amdhsa_exception_int_div_zero 0
	.end_amdhsa_kernel
	.section	.text._ZN2at6native16roll_cuda_kernelIN3c107complexIdEEEEvPKT_PS5_llllll,"axG",@progbits,_ZN2at6native16roll_cuda_kernelIN3c107complexIdEEEEvPKT_PS5_llllll,comdat
.Lfunc_end7:
	.size	_ZN2at6native16roll_cuda_kernelIN3c107complexIdEEEEvPKT_PS5_llllll, .Lfunc_end7-_ZN2at6native16roll_cuda_kernelIN3c107complexIdEEEEvPKT_PS5_llllll
                                        ; -- End function
	.set _ZN2at6native16roll_cuda_kernelIN3c107complexIdEEEEvPKT_PS5_llllll.num_vgpr, 16
	.set _ZN2at6native16roll_cuda_kernelIN3c107complexIdEEEEvPKT_PS5_llllll.num_agpr, 0
	.set _ZN2at6native16roll_cuda_kernelIN3c107complexIdEEEEvPKT_PS5_llllll.numbered_sgpr, 38
	.set _ZN2at6native16roll_cuda_kernelIN3c107complexIdEEEEvPKT_PS5_llllll.num_named_barrier, 0
	.set _ZN2at6native16roll_cuda_kernelIN3c107complexIdEEEEvPKT_PS5_llllll.private_seg_size, 0
	.set _ZN2at6native16roll_cuda_kernelIN3c107complexIdEEEEvPKT_PS5_llllll.uses_vcc, 1
	.set _ZN2at6native16roll_cuda_kernelIN3c107complexIdEEEEvPKT_PS5_llllll.uses_flat_scratch, 0
	.set _ZN2at6native16roll_cuda_kernelIN3c107complexIdEEEEvPKT_PS5_llllll.has_dyn_sized_stack, 0
	.set _ZN2at6native16roll_cuda_kernelIN3c107complexIdEEEEvPKT_PS5_llllll.has_recursion, 0
	.set _ZN2at6native16roll_cuda_kernelIN3c107complexIdEEEEvPKT_PS5_llllll.has_indirect_call, 0
	.section	.AMDGPU.csdata,"",@progbits
; Kernel info:
; codeLenInByte = 1812
; TotalNumSgprs: 42
; NumVgprs: 16
; ScratchSize: 0
; MemoryBound: 0
; FloatMode: 240
; IeeeMode: 1
; LDSByteSize: 0 bytes/workgroup (compile time only)
; SGPRBlocks: 5
; VGPRBlocks: 3
; NumSGPRsForWavesPerEU: 42
; NumVGPRsForWavesPerEU: 16
; Occupancy: 10
; WaveLimiterHint : 0
; COMPUTE_PGM_RSRC2:SCRATCH_EN: 0
; COMPUTE_PGM_RSRC2:USER_SGPR: 6
; COMPUTE_PGM_RSRC2:TRAP_HANDLER: 0
; COMPUTE_PGM_RSRC2:TGID_X_EN: 1
; COMPUTE_PGM_RSRC2:TGID_Y_EN: 0
; COMPUTE_PGM_RSRC2:TGID_Z_EN: 0
; COMPUTE_PGM_RSRC2:TIDIG_COMP_CNT: 0
	.section	.text._ZN2at6native16roll_cuda_kernelIN3c107complexIfEEEEvPKT_PS5_llllll,"axG",@progbits,_ZN2at6native16roll_cuda_kernelIN3c107complexIfEEEEvPKT_PS5_llllll,comdat
	.protected	_ZN2at6native16roll_cuda_kernelIN3c107complexIfEEEEvPKT_PS5_llllll ; -- Begin function _ZN2at6native16roll_cuda_kernelIN3c107complexIfEEEEvPKT_PS5_llllll
	.globl	_ZN2at6native16roll_cuda_kernelIN3c107complexIfEEEEvPKT_PS5_llllll
	.p2align	8
	.type	_ZN2at6native16roll_cuda_kernelIN3c107complexIfEEEEvPKT_PS5_llllll,@function
_ZN2at6native16roll_cuda_kernelIN3c107complexIfEEEEvPKT_PS5_llllll: ; @_ZN2at6native16roll_cuda_kernelIN3c107complexIfEEEEvPKT_PS5_llllll
; %bb.0:
	s_load_dword s2, s[4:5], 0x4c
	s_load_dwordx2 s[12:13], s[4:5], 0x10
	s_add_u32 s0, s4, 64
	v_mov_b32_e32 v2, 0
	s_addc_u32 s1, s5, 0
	s_waitcnt lgkmcnt(0)
	s_and_b32 s2, s2, 0xffff
	v_mov_b32_e32 v1, v2
	v_mov_b32_e32 v3, s6
	v_mad_u64_u32 v[0:1], s[6:7], s2, v3, v[0:1]
	v_cmp_gt_i64_e32 vcc, s[12:13], v[0:1]
	s_and_saveexec_b64 s[6:7], vcc
	s_cbranch_execz .LBB8_11
; %bb.1:
	s_load_dwordx2 s[6:7], s[4:5], 0x30
	s_load_dwordx4 s[16:19], s[4:5], 0x20
	s_load_dwordx4 s[8:11], s[4:5], 0x0
	s_load_dword s3, s[0:1], 0x0
	v_lshlrev_b64 v[4:5], 3, v[0:1]
	s_waitcnt lgkmcnt(0)
	s_mul_i32 s0, s6, s19
	s_mul_hi_u32 s1, s6, s18
	s_add_i32 s0, s1, s0
	s_mul_i32 s1, s7, s18
	s_add_i32 s26, s0, s1
	s_sub_u32 s4, s18, s16
	s_subb_u32 s5, s19, s17
	s_mul_i32 s0, s4, s7
	s_mul_hi_u32 s1, s4, s6
	s_mul_i32 s14, s6, s17
	s_mul_hi_u32 s15, s6, s16
	s_add_i32 s0, s1, s0
	s_mul_i32 s1, s5, s6
	s_add_i32 s14, s15, s14
	s_mul_i32 s15, s7, s16
	s_add_i32 s0, s0, s1
	s_mul_i32 s1, s4, s6
	s_add_i32 s28, s14, s15
	s_mul_i32 s14, s3, s2
	s_mov_b32 s15, 0
	s_sub_u32 s30, 0, s1
	s_mul_i32 s27, s6, s18
	s_mul_i32 s29, s6, s16
	s_mov_b64 s[16:17], 0
	s_subb_u32 s31, 0, s0
	s_lshl_b64 s[18:19], s[14:15], 3
	s_ashr_i32 s20, s26, 31
	s_branch .LBB8_3
.LBB8_2:                                ;   in Loop: Header=BB8_3 Depth=1
	s_or_b64 exec, exec, s[0:1]
	v_cmp_gt_i64_e32 vcc, s[4:5], v[8:9]
	v_mov_b32_e32 v3, s31
	v_mov_b32_e32 v6, s28
	v_cndmask_b32_e32 v7, v3, v6, vcc
	v_mov_b32_e32 v3, s30
	v_mov_b32_e32 v6, s29
	v_cndmask_b32_e32 v6, v3, v6, vcc
	v_lshlrev_b64 v[6:7], 3, v[6:7]
	v_mov_b32_e32 v8, s9
	v_add_co_u32_e32 v3, vcc, v4, v6
	v_addc_co_u32_e32 v7, vcc, v5, v7, vcc
	v_add_co_u32_e32 v6, vcc, s8, v3
	v_addc_co_u32_e32 v7, vcc, v8, v7, vcc
	global_load_dwordx2 v[6:7], v[6:7], off
	v_add_co_u32_e32 v0, vcc, s14, v0
	v_addc_co_u32_e32 v1, vcc, 0, v1, vcc
	v_cmp_le_i64_e32 vcc, s[12:13], v[0:1]
	v_mov_b32_e32 v3, s11
	v_mov_b32_e32 v10, s19
	v_add_co_u32_e64 v8, s[0:1], s10, v4
	s_or_b64 s[16:17], vcc, s[16:17]
	v_add_co_u32_e32 v4, vcc, s18, v4
	v_addc_co_u32_e64 v9, s[0:1], v3, v5, s[0:1]
	v_addc_co_u32_e32 v5, vcc, v5, v10, vcc
	s_waitcnt vmcnt(0)
	global_store_dwordx2 v[8:9], v[6:7], off
	s_andn2_b64 exec, exec, s[16:17]
	s_cbranch_execz .LBB8_11
.LBB8_3:                                ; =>This Inner Loop Header: Depth=1
	v_or_b32_e32 v3, s26, v1
	v_cmp_ne_u64_e32 vcc, 0, v[2:3]
                                        ; implicit-def: $vgpr6_vgpr7
	s_and_saveexec_b64 s[0:1], vcc
	s_xor_b64 s[22:23], exec, s[0:1]
	s_cbranch_execz .LBB8_5
; %bb.4:                                ;   in Loop: Header=BB8_3 Depth=1
	s_add_u32 s0, s27, s20
	s_mov_b32 s21, s20
	s_addc_u32 s1, s26, s20
	s_xor_b64 s[24:25], s[0:1], s[20:21]
	v_cvt_f32_u32_e32 v3, s24
	v_cvt_f32_u32_e32 v6, s25
	s_sub_u32 s2, 0, s24
	s_subb_u32 s3, 0, s25
	v_mac_f32_e32 v3, 0x4f800000, v6
	v_rcp_f32_e32 v3, v3
	v_mul_f32_e32 v3, 0x5f7ffffc, v3
	v_mul_f32_e32 v6, 0x2f800000, v3
	v_trunc_f32_e32 v6, v6
	v_mac_f32_e32 v3, 0xcf800000, v6
	v_cvt_u32_f32_e32 v6, v6
	v_cvt_u32_f32_e32 v3, v3
	v_readfirstlane_b32 s15, v6
	v_readfirstlane_b32 s0, v3
	s_mul_i32 s1, s2, s15
	s_mul_hi_u32 s33, s2, s0
	s_mul_i32 s21, s3, s0
	s_add_i32 s1, s33, s1
	s_add_i32 s1, s1, s21
	s_mul_i32 s34, s2, s0
	s_mul_i32 s33, s0, s1
	s_mul_hi_u32 s35, s0, s34
	s_mul_hi_u32 s21, s0, s1
	s_add_u32 s33, s35, s33
	s_addc_u32 s21, 0, s21
	s_mul_hi_u32 s36, s15, s34
	s_mul_i32 s34, s15, s34
	s_add_u32 s33, s33, s34
	s_mul_hi_u32 s35, s15, s1
	s_addc_u32 s21, s21, s36
	s_addc_u32 s33, s35, 0
	s_mul_i32 s1, s15, s1
	s_add_u32 s1, s21, s1
	s_addc_u32 s21, 0, s33
	s_add_u32 s33, s0, s1
	s_cselect_b64 s[0:1], -1, 0
	s_cmp_lg_u64 s[0:1], 0
	s_addc_u32 s15, s15, s21
	s_mul_i32 s0, s2, s15
	s_mul_hi_u32 s1, s2, s33
	s_add_i32 s0, s1, s0
	s_mul_i32 s3, s3, s33
	s_add_i32 s0, s0, s3
	s_mul_i32 s2, s2, s33
	s_mul_hi_u32 s3, s15, s2
	s_mul_i32 s21, s15, s2
	s_mul_i32 s35, s33, s0
	s_mul_hi_u32 s2, s33, s2
	s_mul_hi_u32 s34, s33, s0
	s_add_u32 s2, s2, s35
	s_addc_u32 s34, 0, s34
	s_add_u32 s2, s2, s21
	s_mul_hi_u32 s1, s15, s0
	s_addc_u32 s2, s34, s3
	s_addc_u32 s1, s1, 0
	s_mul_i32 s0, s15, s0
	s_add_u32 s0, s2, s0
	s_addc_u32 s2, 0, s1
	s_add_u32 s3, s33, s0
	s_cselect_b64 s[0:1], -1, 0
	v_ashrrev_i32_e32 v3, 31, v1
	s_cmp_lg_u64 s[0:1], 0
	v_add_co_u32_e32 v6, vcc, v0, v3
	s_addc_u32 s2, s15, s2
	v_xor_b32_e32 v10, v6, v3
	v_mad_u64_u32 v[6:7], s[0:1], v10, s2, 0
	v_mul_hi_u32 v9, v10, s3
	v_addc_co_u32_e32 v8, vcc, v1, v3, vcc
	v_xor_b32_e32 v11, v8, v3
	v_add_co_u32_e32 v12, vcc, v9, v6
	v_addc_co_u32_e32 v13, vcc, 0, v7, vcc
	v_mad_u64_u32 v[6:7], s[0:1], v11, s3, 0
	v_mad_u64_u32 v[8:9], s[0:1], v11, s2, 0
	v_add_co_u32_e32 v6, vcc, v12, v6
	v_addc_co_u32_e32 v6, vcc, v13, v7, vcc
	v_addc_co_u32_e32 v7, vcc, 0, v9, vcc
	v_add_co_u32_e32 v6, vcc, v6, v8
	v_addc_co_u32_e32 v7, vcc, 0, v7, vcc
	v_mul_lo_u32 v8, s25, v6
	v_mul_lo_u32 v9, s24, v7
	v_mad_u64_u32 v[6:7], s[0:1], s24, v6, 0
	v_add3_u32 v7, v7, v9, v8
	v_sub_u32_e32 v8, v11, v7
	v_mov_b32_e32 v9, s25
	v_sub_co_u32_e32 v6, vcc, v10, v6
	v_subb_co_u32_e64 v8, s[0:1], v8, v9, vcc
	v_subrev_co_u32_e64 v10, s[0:1], s24, v6
	v_subbrev_co_u32_e64 v12, s[2:3], 0, v8, s[0:1]
	v_cmp_le_u32_e64 s[2:3], s25, v12
	v_cndmask_b32_e64 v13, 0, -1, s[2:3]
	v_cmp_le_u32_e64 s[2:3], s24, v10
	v_subb_co_u32_e64 v8, s[0:1], v8, v9, s[0:1]
	v_cndmask_b32_e64 v14, 0, -1, s[2:3]
	v_cmp_eq_u32_e64 s[2:3], s25, v12
	v_subrev_co_u32_e64 v9, s[0:1], s24, v10
	v_subb_co_u32_e32 v7, vcc, v11, v7, vcc
	v_cndmask_b32_e64 v13, v13, v14, s[2:3]
	v_subbrev_co_u32_e64 v8, s[0:1], 0, v8, s[0:1]
	v_cmp_le_u32_e32 vcc, s25, v7
	v_cmp_ne_u32_e64 s[0:1], 0, v13
	v_cndmask_b32_e64 v11, 0, -1, vcc
	v_cmp_le_u32_e32 vcc, s24, v6
	v_cndmask_b32_e64 v8, v12, v8, s[0:1]
	v_cndmask_b32_e64 v12, 0, -1, vcc
	v_cmp_eq_u32_e32 vcc, s25, v7
	v_cndmask_b32_e32 v11, v11, v12, vcc
	v_cmp_ne_u32_e32 vcc, 0, v11
	v_cndmask_b32_e32 v7, v7, v8, vcc
	v_cndmask_b32_e64 v8, v10, v9, s[0:1]
	v_cndmask_b32_e32 v6, v6, v8, vcc
	v_xor_b32_e32 v6, v6, v3
	v_xor_b32_e32 v7, v7, v3
	v_sub_co_u32_e32 v6, vcc, v6, v3
	v_subb_co_u32_e32 v7, vcc, v7, v3, vcc
.LBB8_5:                                ;   in Loop: Header=BB8_3 Depth=1
	s_andn2_saveexec_b64 s[0:1], s[22:23]
	s_cbranch_execz .LBB8_7
; %bb.6:                                ;   in Loop: Header=BB8_3 Depth=1
	v_cvt_f32_u32_e32 v3, s27
	s_sub_i32 s2, 0, s27
	v_mov_b32_e32 v7, v2
	v_rcp_iflag_f32_e32 v3, v3
	v_mul_f32_e32 v3, 0x4f7ffffe, v3
	v_cvt_u32_f32_e32 v3, v3
	v_mul_lo_u32 v6, s2, v3
	v_mul_hi_u32 v6, v3, v6
	v_add_u32_e32 v3, v3, v6
	v_mul_hi_u32 v3, v0, v3
	v_mul_lo_u32 v3, v3, s27
	v_sub_u32_e32 v3, v0, v3
	v_subrev_u32_e32 v6, s27, v3
	v_cmp_le_u32_e32 vcc, s27, v3
	v_cndmask_b32_e32 v3, v3, v6, vcc
	v_subrev_u32_e32 v6, s27, v3
	v_cmp_le_u32_e32 vcc, s27, v3
	v_cndmask_b32_e32 v6, v3, v6, vcc
.LBB8_7:                                ;   in Loop: Header=BB8_3 Depth=1
	s_or_b64 exec, exec, s[0:1]
	v_or_b32_e32 v3, s7, v7
	v_cmp_ne_u64_e32 vcc, 0, v[2:3]
                                        ; implicit-def: $vgpr8_vgpr9
	s_and_saveexec_b64 s[0:1], vcc
	s_xor_b64 s[2:3], exec, s[0:1]
	s_cbranch_execz .LBB8_9
; %bb.8:                                ;   in Loop: Header=BB8_3 Depth=1
	s_ashr_i32 s22, s7, 31
	s_add_u32 s0, s6, s22
	s_mov_b32 s23, s22
	s_addc_u32 s1, s7, s22
	s_xor_b64 s[24:25], s[0:1], s[22:23]
	v_cvt_f32_u32_e32 v3, s24
	v_cvt_f32_u32_e32 v8, s25
	s_sub_u32 s15, 0, s24
	s_subb_u32 s21, 0, s25
	v_mac_f32_e32 v3, 0x4f800000, v8
	v_rcp_f32_e32 v3, v3
	v_mul_f32_e32 v3, 0x5f7ffffc, v3
	v_mul_f32_e32 v8, 0x2f800000, v3
	v_trunc_f32_e32 v8, v8
	v_mac_f32_e32 v3, 0xcf800000, v8
	v_cvt_u32_f32_e32 v8, v8
	v_cvt_u32_f32_e32 v3, v3
	v_readfirstlane_b32 s23, v8
	v_readfirstlane_b32 s0, v3
	s_mul_i32 s1, s15, s23
	s_mul_hi_u32 s34, s15, s0
	s_mul_i32 s33, s21, s0
	s_add_i32 s1, s34, s1
	s_add_i32 s1, s1, s33
	s_mul_i32 s35, s15, s0
	s_mul_i32 s34, s0, s1
	s_mul_hi_u32 s36, s0, s35
	s_mul_hi_u32 s33, s0, s1
	s_add_u32 s34, s36, s34
	s_addc_u32 s33, 0, s33
	s_mul_hi_u32 s37, s23, s35
	s_mul_i32 s35, s23, s35
	s_add_u32 s34, s34, s35
	s_mul_hi_u32 s36, s23, s1
	s_addc_u32 s33, s33, s37
	s_addc_u32 s34, s36, 0
	s_mul_i32 s1, s23, s1
	s_add_u32 s1, s33, s1
	s_addc_u32 s33, 0, s34
	s_add_u32 s34, s0, s1
	s_cselect_b64 s[0:1], -1, 0
	s_cmp_lg_u64 s[0:1], 0
	s_addc_u32 s23, s23, s33
	s_mul_i32 s0, s15, s23
	s_mul_hi_u32 s1, s15, s34
	s_add_i32 s0, s1, s0
	s_mul_i32 s21, s21, s34
	s_add_i32 s0, s0, s21
	s_mul_i32 s15, s15, s34
	s_mul_hi_u32 s21, s23, s15
	s_mul_i32 s33, s23, s15
	s_mul_i32 s36, s34, s0
	s_mul_hi_u32 s15, s34, s15
	s_mul_hi_u32 s35, s34, s0
	s_add_u32 s15, s15, s36
	s_addc_u32 s35, 0, s35
	s_add_u32 s15, s15, s33
	s_mul_hi_u32 s1, s23, s0
	s_addc_u32 s15, s35, s21
	s_addc_u32 s1, s1, 0
	s_mul_i32 s0, s23, s0
	s_add_u32 s0, s15, s0
	s_addc_u32 s15, 0, s1
	s_add_u32 s21, s34, s0
	s_cselect_b64 s[0:1], -1, 0
	v_ashrrev_i32_e32 v3, 31, v7
	s_cmp_lg_u64 s[0:1], 0
	v_add_co_u32_e32 v6, vcc, v6, v3
	s_addc_u32 s15, s23, s15
	v_xor_b32_e32 v10, v6, v3
	v_addc_co_u32_e32 v8, vcc, v7, v3, vcc
	v_mad_u64_u32 v[6:7], s[0:1], v10, s15, 0
	v_mul_hi_u32 v9, v10, s21
	v_xor_b32_e32 v11, v8, v3
	v_xor_b32_e32 v3, s22, v3
	v_add_co_u32_e32 v12, vcc, v9, v6
	v_addc_co_u32_e32 v13, vcc, 0, v7, vcc
	v_mad_u64_u32 v[6:7], s[0:1], v11, s21, 0
	v_mad_u64_u32 v[8:9], s[0:1], v11, s15, 0
	v_add_co_u32_e32 v6, vcc, v12, v6
	v_addc_co_u32_e32 v6, vcc, v13, v7, vcc
	v_addc_co_u32_e32 v7, vcc, 0, v9, vcc
	v_add_co_u32_e32 v8, vcc, v6, v8
	v_addc_co_u32_e32 v9, vcc, 0, v7, vcc
	v_mul_lo_u32 v12, s25, v8
	v_mul_lo_u32 v13, s24, v9
	v_mad_u64_u32 v[6:7], s[0:1], s24, v8, 0
	v_add3_u32 v7, v7, v13, v12
	v_sub_u32_e32 v12, v11, v7
	v_mov_b32_e32 v13, s25
	v_sub_co_u32_e32 v6, vcc, v10, v6
	v_subb_co_u32_e64 v10, s[0:1], v12, v13, vcc
	v_subrev_co_u32_e64 v12, s[0:1], s24, v6
	v_subbrev_co_u32_e64 v10, s[0:1], 0, v10, s[0:1]
	v_cmp_le_u32_e64 s[0:1], s25, v10
	v_cndmask_b32_e64 v13, 0, -1, s[0:1]
	v_cmp_le_u32_e64 s[0:1], s24, v12
	v_cndmask_b32_e64 v12, 0, -1, s[0:1]
	v_cmp_eq_u32_e64 s[0:1], s25, v10
	v_cndmask_b32_e64 v10, v13, v12, s[0:1]
	v_add_co_u32_e64 v12, s[0:1], 2, v8
	v_subb_co_u32_e32 v7, vcc, v11, v7, vcc
	v_addc_co_u32_e64 v13, s[0:1], 0, v9, s[0:1]
	v_cmp_le_u32_e32 vcc, s25, v7
	v_add_co_u32_e64 v14, s[0:1], 1, v8
	v_cndmask_b32_e64 v11, 0, -1, vcc
	v_cmp_le_u32_e32 vcc, s24, v6
	v_addc_co_u32_e64 v15, s[0:1], 0, v9, s[0:1]
	v_cndmask_b32_e64 v6, 0, -1, vcc
	v_cmp_eq_u32_e32 vcc, s25, v7
	v_cmp_ne_u32_e64 s[0:1], 0, v10
	v_cndmask_b32_e32 v6, v11, v6, vcc
	v_cmp_ne_u32_e32 vcc, 0, v6
	v_cndmask_b32_e64 v7, v14, v12, s[0:1]
	v_cndmask_b32_e64 v10, v15, v13, s[0:1]
	v_cndmask_b32_e32 v7, v8, v7, vcc
	v_cndmask_b32_e32 v6, v9, v10, vcc
	v_xor_b32_e32 v7, v7, v3
	v_xor_b32_e32 v6, v6, v3
	v_sub_co_u32_e32 v8, vcc, v7, v3
	v_subb_co_u32_e32 v9, vcc, v6, v3, vcc
                                        ; implicit-def: $vgpr6_vgpr7
.LBB8_9:                                ;   in Loop: Header=BB8_3 Depth=1
	s_andn2_saveexec_b64 s[0:1], s[2:3]
	s_cbranch_execz .LBB8_2
; %bb.10:                               ;   in Loop: Header=BB8_3 Depth=1
	v_cvt_f32_u32_e32 v3, s6
	s_sub_i32 s2, 0, s6
	v_mov_b32_e32 v9, v2
	v_rcp_iflag_f32_e32 v3, v3
	v_mul_f32_e32 v3, 0x4f7ffffe, v3
	v_cvt_u32_f32_e32 v3, v3
	v_mul_lo_u32 v7, s2, v3
	v_mul_hi_u32 v7, v3, v7
	v_add_u32_e32 v3, v3, v7
	v_mul_hi_u32 v3, v6, v3
	v_mul_lo_u32 v7, v3, s6
	v_add_u32_e32 v8, 1, v3
	v_sub_u32_e32 v6, v6, v7
	v_subrev_u32_e32 v7, s6, v6
	v_cmp_le_u32_e32 vcc, s6, v6
	v_cndmask_b32_e32 v6, v6, v7, vcc
	v_cndmask_b32_e32 v3, v3, v8, vcc
	v_add_u32_e32 v7, 1, v3
	v_cmp_le_u32_e32 vcc, s6, v6
	v_cndmask_b32_e32 v8, v3, v7, vcc
	s_branch .LBB8_2
.LBB8_11:
	s_endpgm
	.section	.rodata,"a",@progbits
	.p2align	6, 0x0
	.amdhsa_kernel _ZN2at6native16roll_cuda_kernelIN3c107complexIfEEEEvPKT_PS5_llllll
		.amdhsa_group_segment_fixed_size 0
		.amdhsa_private_segment_fixed_size 0
		.amdhsa_kernarg_size 320
		.amdhsa_user_sgpr_count 6
		.amdhsa_user_sgpr_private_segment_buffer 1
		.amdhsa_user_sgpr_dispatch_ptr 0
		.amdhsa_user_sgpr_queue_ptr 0
		.amdhsa_user_sgpr_kernarg_segment_ptr 1
		.amdhsa_user_sgpr_dispatch_id 0
		.amdhsa_user_sgpr_flat_scratch_init 0
		.amdhsa_user_sgpr_private_segment_size 0
		.amdhsa_uses_dynamic_stack 0
		.amdhsa_system_sgpr_private_segment_wavefront_offset 0
		.amdhsa_system_sgpr_workgroup_id_x 1
		.amdhsa_system_sgpr_workgroup_id_y 0
		.amdhsa_system_sgpr_workgroup_id_z 0
		.amdhsa_system_sgpr_workgroup_info 0
		.amdhsa_system_vgpr_workitem_id 0
		.amdhsa_next_free_vgpr 16
		.amdhsa_next_free_sgpr 38
		.amdhsa_reserve_vcc 1
		.amdhsa_reserve_flat_scratch 0
		.amdhsa_float_round_mode_32 0
		.amdhsa_float_round_mode_16_64 0
		.amdhsa_float_denorm_mode_32 3
		.amdhsa_float_denorm_mode_16_64 3
		.amdhsa_dx10_clamp 1
		.amdhsa_ieee_mode 1
		.amdhsa_fp16_overflow 0
		.amdhsa_exception_fp_ieee_invalid_op 0
		.amdhsa_exception_fp_denorm_src 0
		.amdhsa_exception_fp_ieee_div_zero 0
		.amdhsa_exception_fp_ieee_overflow 0
		.amdhsa_exception_fp_ieee_underflow 0
		.amdhsa_exception_fp_ieee_inexact 0
		.amdhsa_exception_int_div_zero 0
	.end_amdhsa_kernel
	.section	.text._ZN2at6native16roll_cuda_kernelIN3c107complexIfEEEEvPKT_PS5_llllll,"axG",@progbits,_ZN2at6native16roll_cuda_kernelIN3c107complexIfEEEEvPKT_PS5_llllll,comdat
.Lfunc_end8:
	.size	_ZN2at6native16roll_cuda_kernelIN3c107complexIfEEEEvPKT_PS5_llllll, .Lfunc_end8-_ZN2at6native16roll_cuda_kernelIN3c107complexIfEEEEvPKT_PS5_llllll
                                        ; -- End function
	.set _ZN2at6native16roll_cuda_kernelIN3c107complexIfEEEEvPKT_PS5_llllll.num_vgpr, 16
	.set _ZN2at6native16roll_cuda_kernelIN3c107complexIfEEEEvPKT_PS5_llllll.num_agpr, 0
	.set _ZN2at6native16roll_cuda_kernelIN3c107complexIfEEEEvPKT_PS5_llllll.numbered_sgpr, 38
	.set _ZN2at6native16roll_cuda_kernelIN3c107complexIfEEEEvPKT_PS5_llllll.num_named_barrier, 0
	.set _ZN2at6native16roll_cuda_kernelIN3c107complexIfEEEEvPKT_PS5_llllll.private_seg_size, 0
	.set _ZN2at6native16roll_cuda_kernelIN3c107complexIfEEEEvPKT_PS5_llllll.uses_vcc, 1
	.set _ZN2at6native16roll_cuda_kernelIN3c107complexIfEEEEvPKT_PS5_llllll.uses_flat_scratch, 0
	.set _ZN2at6native16roll_cuda_kernelIN3c107complexIfEEEEvPKT_PS5_llllll.has_dyn_sized_stack, 0
	.set _ZN2at6native16roll_cuda_kernelIN3c107complexIfEEEEvPKT_PS5_llllll.has_recursion, 0
	.set _ZN2at6native16roll_cuda_kernelIN3c107complexIfEEEEvPKT_PS5_llllll.has_indirect_call, 0
	.section	.AMDGPU.csdata,"",@progbits
; Kernel info:
; codeLenInByte = 1812
; TotalNumSgprs: 42
; NumVgprs: 16
; ScratchSize: 0
; MemoryBound: 0
; FloatMode: 240
; IeeeMode: 1
; LDSByteSize: 0 bytes/workgroup (compile time only)
; SGPRBlocks: 5
; VGPRBlocks: 3
; NumSGPRsForWavesPerEU: 42
; NumVGPRsForWavesPerEU: 16
; Occupancy: 10
; WaveLimiterHint : 0
; COMPUTE_PGM_RSRC2:SCRATCH_EN: 0
; COMPUTE_PGM_RSRC2:USER_SGPR: 6
; COMPUTE_PGM_RSRC2:TRAP_HANDLER: 0
; COMPUTE_PGM_RSRC2:TGID_X_EN: 1
; COMPUTE_PGM_RSRC2:TGID_Y_EN: 0
; COMPUTE_PGM_RSRC2:TGID_Z_EN: 0
; COMPUTE_PGM_RSRC2:TIDIG_COMP_CNT: 0
	.section	.text._ZN2at6native16roll_cuda_kernelIN3c104HalfEEEvPKT_PS4_llllll,"axG",@progbits,_ZN2at6native16roll_cuda_kernelIN3c104HalfEEEvPKT_PS4_llllll,comdat
	.protected	_ZN2at6native16roll_cuda_kernelIN3c104HalfEEEvPKT_PS4_llllll ; -- Begin function _ZN2at6native16roll_cuda_kernelIN3c104HalfEEEvPKT_PS4_llllll
	.globl	_ZN2at6native16roll_cuda_kernelIN3c104HalfEEEvPKT_PS4_llllll
	.p2align	8
	.type	_ZN2at6native16roll_cuda_kernelIN3c104HalfEEEvPKT_PS4_llllll,@function
_ZN2at6native16roll_cuda_kernelIN3c104HalfEEEvPKT_PS4_llllll: ; @_ZN2at6native16roll_cuda_kernelIN3c104HalfEEEvPKT_PS4_llllll
; %bb.0:
	s_load_dword s2, s[4:5], 0x4c
	s_load_dwordx2 s[12:13], s[4:5], 0x10
	s_add_u32 s0, s4, 64
	v_mov_b32_e32 v2, 0
	s_addc_u32 s1, s5, 0
	s_waitcnt lgkmcnt(0)
	s_and_b32 s2, s2, 0xffff
	v_mov_b32_e32 v1, v2
	v_mov_b32_e32 v3, s6
	v_mad_u64_u32 v[0:1], s[6:7], s2, v3, v[0:1]
	v_cmp_gt_i64_e32 vcc, s[12:13], v[0:1]
	s_and_saveexec_b64 s[6:7], vcc
	s_cbranch_execz .LBB9_11
; %bb.1:
	s_load_dwordx2 s[6:7], s[4:5], 0x30
	s_load_dwordx4 s[16:19], s[4:5], 0x20
	s_load_dwordx4 s[8:11], s[4:5], 0x0
	s_load_dword s3, s[0:1], 0x0
	v_lshlrev_b64 v[4:5], 1, v[0:1]
	s_waitcnt lgkmcnt(0)
	s_mul_i32 s0, s6, s19
	s_mul_hi_u32 s1, s6, s18
	s_add_i32 s0, s1, s0
	s_mul_i32 s1, s7, s18
	s_add_i32 s26, s0, s1
	s_sub_u32 s4, s18, s16
	s_subb_u32 s5, s19, s17
	s_mul_i32 s0, s4, s7
	s_mul_hi_u32 s1, s4, s6
	s_mul_i32 s14, s6, s17
	s_mul_hi_u32 s15, s6, s16
	s_add_i32 s0, s1, s0
	s_mul_i32 s1, s5, s6
	s_add_i32 s14, s15, s14
	s_mul_i32 s15, s7, s16
	;; [unrolled: 2-line block ×4, first 2 shown]
	s_mov_b32 s15, 0
	s_sub_u32 s30, 0, s1
	s_mul_i32 s27, s6, s18
	s_mul_i32 s29, s6, s16
	s_mov_b64 s[16:17], 0
	s_subb_u32 s31, 0, s0
	s_lshl_b64 s[18:19], s[14:15], 1
	s_ashr_i32 s20, s26, 31
	s_branch .LBB9_3
.LBB9_2:                                ;   in Loop: Header=BB9_3 Depth=1
	s_or_b64 exec, exec, s[0:1]
	v_cmp_gt_i64_e32 vcc, s[4:5], v[8:9]
	v_mov_b32_e32 v3, s31
	v_mov_b32_e32 v6, s28
	v_cndmask_b32_e32 v7, v3, v6, vcc
	v_mov_b32_e32 v3, s30
	v_mov_b32_e32 v6, s29
	v_cndmask_b32_e32 v6, v3, v6, vcc
	v_lshlrev_b64 v[6:7], 1, v[6:7]
	v_mov_b32_e32 v8, s9
	v_add_co_u32_e32 v3, vcc, v4, v6
	v_addc_co_u32_e32 v7, vcc, v5, v7, vcc
	v_add_co_u32_e32 v6, vcc, s8, v3
	v_addc_co_u32_e32 v7, vcc, v8, v7, vcc
	global_load_ushort v3, v[6:7], off
	v_add_co_u32_e32 v0, vcc, s14, v0
	v_addc_co_u32_e32 v1, vcc, 0, v1, vcc
	v_cmp_le_i64_e32 vcc, s[12:13], v[0:1]
	v_mov_b32_e32 v7, s11
	v_mov_b32_e32 v8, s19
	v_add_co_u32_e64 v6, s[0:1], s10, v4
	s_or_b64 s[16:17], vcc, s[16:17]
	v_add_co_u32_e32 v4, vcc, s18, v4
	v_addc_co_u32_e64 v7, s[0:1], v7, v5, s[0:1]
	v_addc_co_u32_e32 v5, vcc, v5, v8, vcc
	s_waitcnt vmcnt(0)
	global_store_short v[6:7], v3, off
	s_andn2_b64 exec, exec, s[16:17]
	s_cbranch_execz .LBB9_11
.LBB9_3:                                ; =>This Inner Loop Header: Depth=1
	v_or_b32_e32 v3, s26, v1
	v_cmp_ne_u64_e32 vcc, 0, v[2:3]
                                        ; implicit-def: $vgpr6_vgpr7
	s_and_saveexec_b64 s[0:1], vcc
	s_xor_b64 s[22:23], exec, s[0:1]
	s_cbranch_execz .LBB9_5
; %bb.4:                                ;   in Loop: Header=BB9_3 Depth=1
	s_add_u32 s0, s27, s20
	s_mov_b32 s21, s20
	s_addc_u32 s1, s26, s20
	s_xor_b64 s[24:25], s[0:1], s[20:21]
	v_cvt_f32_u32_e32 v3, s24
	v_cvt_f32_u32_e32 v6, s25
	s_sub_u32 s2, 0, s24
	s_subb_u32 s3, 0, s25
	v_mac_f32_e32 v3, 0x4f800000, v6
	v_rcp_f32_e32 v3, v3
	v_mul_f32_e32 v3, 0x5f7ffffc, v3
	v_mul_f32_e32 v6, 0x2f800000, v3
	v_trunc_f32_e32 v6, v6
	v_mac_f32_e32 v3, 0xcf800000, v6
	v_cvt_u32_f32_e32 v6, v6
	v_cvt_u32_f32_e32 v3, v3
	v_readfirstlane_b32 s15, v6
	v_readfirstlane_b32 s0, v3
	s_mul_i32 s1, s2, s15
	s_mul_hi_u32 s33, s2, s0
	s_mul_i32 s21, s3, s0
	s_add_i32 s1, s33, s1
	s_add_i32 s1, s1, s21
	s_mul_i32 s34, s2, s0
	s_mul_i32 s33, s0, s1
	s_mul_hi_u32 s35, s0, s34
	s_mul_hi_u32 s21, s0, s1
	s_add_u32 s33, s35, s33
	s_addc_u32 s21, 0, s21
	s_mul_hi_u32 s36, s15, s34
	s_mul_i32 s34, s15, s34
	s_add_u32 s33, s33, s34
	s_mul_hi_u32 s35, s15, s1
	s_addc_u32 s21, s21, s36
	s_addc_u32 s33, s35, 0
	s_mul_i32 s1, s15, s1
	s_add_u32 s1, s21, s1
	s_addc_u32 s21, 0, s33
	s_add_u32 s33, s0, s1
	s_cselect_b64 s[0:1], -1, 0
	s_cmp_lg_u64 s[0:1], 0
	s_addc_u32 s15, s15, s21
	s_mul_i32 s0, s2, s15
	s_mul_hi_u32 s1, s2, s33
	s_add_i32 s0, s1, s0
	s_mul_i32 s3, s3, s33
	s_add_i32 s0, s0, s3
	s_mul_i32 s2, s2, s33
	s_mul_hi_u32 s3, s15, s2
	s_mul_i32 s21, s15, s2
	s_mul_i32 s35, s33, s0
	s_mul_hi_u32 s2, s33, s2
	s_mul_hi_u32 s34, s33, s0
	s_add_u32 s2, s2, s35
	s_addc_u32 s34, 0, s34
	s_add_u32 s2, s2, s21
	s_mul_hi_u32 s1, s15, s0
	s_addc_u32 s2, s34, s3
	s_addc_u32 s1, s1, 0
	s_mul_i32 s0, s15, s0
	s_add_u32 s0, s2, s0
	s_addc_u32 s2, 0, s1
	s_add_u32 s3, s33, s0
	s_cselect_b64 s[0:1], -1, 0
	v_ashrrev_i32_e32 v3, 31, v1
	s_cmp_lg_u64 s[0:1], 0
	v_add_co_u32_e32 v6, vcc, v0, v3
	s_addc_u32 s2, s15, s2
	v_xor_b32_e32 v10, v6, v3
	v_mad_u64_u32 v[6:7], s[0:1], v10, s2, 0
	v_mul_hi_u32 v9, v10, s3
	v_addc_co_u32_e32 v8, vcc, v1, v3, vcc
	v_xor_b32_e32 v11, v8, v3
	v_add_co_u32_e32 v12, vcc, v9, v6
	v_addc_co_u32_e32 v13, vcc, 0, v7, vcc
	v_mad_u64_u32 v[6:7], s[0:1], v11, s3, 0
	v_mad_u64_u32 v[8:9], s[0:1], v11, s2, 0
	v_add_co_u32_e32 v6, vcc, v12, v6
	v_addc_co_u32_e32 v6, vcc, v13, v7, vcc
	v_addc_co_u32_e32 v7, vcc, 0, v9, vcc
	v_add_co_u32_e32 v6, vcc, v6, v8
	v_addc_co_u32_e32 v7, vcc, 0, v7, vcc
	v_mul_lo_u32 v8, s25, v6
	v_mul_lo_u32 v9, s24, v7
	v_mad_u64_u32 v[6:7], s[0:1], s24, v6, 0
	v_add3_u32 v7, v7, v9, v8
	v_sub_u32_e32 v8, v11, v7
	v_mov_b32_e32 v9, s25
	v_sub_co_u32_e32 v6, vcc, v10, v6
	v_subb_co_u32_e64 v8, s[0:1], v8, v9, vcc
	v_subrev_co_u32_e64 v10, s[0:1], s24, v6
	v_subbrev_co_u32_e64 v12, s[2:3], 0, v8, s[0:1]
	v_cmp_le_u32_e64 s[2:3], s25, v12
	v_cndmask_b32_e64 v13, 0, -1, s[2:3]
	v_cmp_le_u32_e64 s[2:3], s24, v10
	v_subb_co_u32_e64 v8, s[0:1], v8, v9, s[0:1]
	v_cndmask_b32_e64 v14, 0, -1, s[2:3]
	v_cmp_eq_u32_e64 s[2:3], s25, v12
	v_subrev_co_u32_e64 v9, s[0:1], s24, v10
	v_subb_co_u32_e32 v7, vcc, v11, v7, vcc
	v_cndmask_b32_e64 v13, v13, v14, s[2:3]
	v_subbrev_co_u32_e64 v8, s[0:1], 0, v8, s[0:1]
	v_cmp_le_u32_e32 vcc, s25, v7
	v_cmp_ne_u32_e64 s[0:1], 0, v13
	v_cndmask_b32_e64 v11, 0, -1, vcc
	v_cmp_le_u32_e32 vcc, s24, v6
	v_cndmask_b32_e64 v8, v12, v8, s[0:1]
	v_cndmask_b32_e64 v12, 0, -1, vcc
	v_cmp_eq_u32_e32 vcc, s25, v7
	v_cndmask_b32_e32 v11, v11, v12, vcc
	v_cmp_ne_u32_e32 vcc, 0, v11
	v_cndmask_b32_e32 v7, v7, v8, vcc
	v_cndmask_b32_e64 v8, v10, v9, s[0:1]
	v_cndmask_b32_e32 v6, v6, v8, vcc
	v_xor_b32_e32 v6, v6, v3
	v_xor_b32_e32 v7, v7, v3
	v_sub_co_u32_e32 v6, vcc, v6, v3
	v_subb_co_u32_e32 v7, vcc, v7, v3, vcc
.LBB9_5:                                ;   in Loop: Header=BB9_3 Depth=1
	s_andn2_saveexec_b64 s[0:1], s[22:23]
	s_cbranch_execz .LBB9_7
; %bb.6:                                ;   in Loop: Header=BB9_3 Depth=1
	v_cvt_f32_u32_e32 v3, s27
	s_sub_i32 s2, 0, s27
	v_mov_b32_e32 v7, v2
	v_rcp_iflag_f32_e32 v3, v3
	v_mul_f32_e32 v3, 0x4f7ffffe, v3
	v_cvt_u32_f32_e32 v3, v3
	v_mul_lo_u32 v6, s2, v3
	v_mul_hi_u32 v6, v3, v6
	v_add_u32_e32 v3, v3, v6
	v_mul_hi_u32 v3, v0, v3
	v_mul_lo_u32 v3, v3, s27
	v_sub_u32_e32 v3, v0, v3
	v_subrev_u32_e32 v6, s27, v3
	v_cmp_le_u32_e32 vcc, s27, v3
	v_cndmask_b32_e32 v3, v3, v6, vcc
	v_subrev_u32_e32 v6, s27, v3
	v_cmp_le_u32_e32 vcc, s27, v3
	v_cndmask_b32_e32 v6, v3, v6, vcc
.LBB9_7:                                ;   in Loop: Header=BB9_3 Depth=1
	s_or_b64 exec, exec, s[0:1]
	v_or_b32_e32 v3, s7, v7
	v_cmp_ne_u64_e32 vcc, 0, v[2:3]
                                        ; implicit-def: $vgpr8_vgpr9
	s_and_saveexec_b64 s[0:1], vcc
	s_xor_b64 s[2:3], exec, s[0:1]
	s_cbranch_execz .LBB9_9
; %bb.8:                                ;   in Loop: Header=BB9_3 Depth=1
	s_ashr_i32 s22, s7, 31
	s_add_u32 s0, s6, s22
	s_mov_b32 s23, s22
	s_addc_u32 s1, s7, s22
	s_xor_b64 s[24:25], s[0:1], s[22:23]
	v_cvt_f32_u32_e32 v3, s24
	v_cvt_f32_u32_e32 v8, s25
	s_sub_u32 s15, 0, s24
	s_subb_u32 s21, 0, s25
	v_mac_f32_e32 v3, 0x4f800000, v8
	v_rcp_f32_e32 v3, v3
	v_mul_f32_e32 v3, 0x5f7ffffc, v3
	v_mul_f32_e32 v8, 0x2f800000, v3
	v_trunc_f32_e32 v8, v8
	v_mac_f32_e32 v3, 0xcf800000, v8
	v_cvt_u32_f32_e32 v8, v8
	v_cvt_u32_f32_e32 v3, v3
	v_readfirstlane_b32 s23, v8
	v_readfirstlane_b32 s0, v3
	s_mul_i32 s1, s15, s23
	s_mul_hi_u32 s34, s15, s0
	s_mul_i32 s33, s21, s0
	s_add_i32 s1, s34, s1
	s_add_i32 s1, s1, s33
	s_mul_i32 s35, s15, s0
	s_mul_i32 s34, s0, s1
	s_mul_hi_u32 s36, s0, s35
	s_mul_hi_u32 s33, s0, s1
	s_add_u32 s34, s36, s34
	s_addc_u32 s33, 0, s33
	s_mul_hi_u32 s37, s23, s35
	s_mul_i32 s35, s23, s35
	s_add_u32 s34, s34, s35
	s_mul_hi_u32 s36, s23, s1
	s_addc_u32 s33, s33, s37
	s_addc_u32 s34, s36, 0
	s_mul_i32 s1, s23, s1
	s_add_u32 s1, s33, s1
	s_addc_u32 s33, 0, s34
	s_add_u32 s34, s0, s1
	s_cselect_b64 s[0:1], -1, 0
	s_cmp_lg_u64 s[0:1], 0
	s_addc_u32 s23, s23, s33
	s_mul_i32 s0, s15, s23
	s_mul_hi_u32 s1, s15, s34
	s_add_i32 s0, s1, s0
	s_mul_i32 s21, s21, s34
	s_add_i32 s0, s0, s21
	s_mul_i32 s15, s15, s34
	s_mul_hi_u32 s21, s23, s15
	s_mul_i32 s33, s23, s15
	s_mul_i32 s36, s34, s0
	s_mul_hi_u32 s15, s34, s15
	s_mul_hi_u32 s35, s34, s0
	s_add_u32 s15, s15, s36
	s_addc_u32 s35, 0, s35
	s_add_u32 s15, s15, s33
	s_mul_hi_u32 s1, s23, s0
	s_addc_u32 s15, s35, s21
	s_addc_u32 s1, s1, 0
	s_mul_i32 s0, s23, s0
	s_add_u32 s0, s15, s0
	s_addc_u32 s15, 0, s1
	s_add_u32 s21, s34, s0
	s_cselect_b64 s[0:1], -1, 0
	v_ashrrev_i32_e32 v3, 31, v7
	s_cmp_lg_u64 s[0:1], 0
	v_add_co_u32_e32 v6, vcc, v6, v3
	s_addc_u32 s15, s23, s15
	v_xor_b32_e32 v10, v6, v3
	v_addc_co_u32_e32 v8, vcc, v7, v3, vcc
	v_mad_u64_u32 v[6:7], s[0:1], v10, s15, 0
	v_mul_hi_u32 v9, v10, s21
	v_xor_b32_e32 v11, v8, v3
	v_xor_b32_e32 v3, s22, v3
	v_add_co_u32_e32 v12, vcc, v9, v6
	v_addc_co_u32_e32 v13, vcc, 0, v7, vcc
	v_mad_u64_u32 v[6:7], s[0:1], v11, s21, 0
	v_mad_u64_u32 v[8:9], s[0:1], v11, s15, 0
	v_add_co_u32_e32 v6, vcc, v12, v6
	v_addc_co_u32_e32 v6, vcc, v13, v7, vcc
	v_addc_co_u32_e32 v7, vcc, 0, v9, vcc
	v_add_co_u32_e32 v8, vcc, v6, v8
	v_addc_co_u32_e32 v9, vcc, 0, v7, vcc
	v_mul_lo_u32 v12, s25, v8
	v_mul_lo_u32 v13, s24, v9
	v_mad_u64_u32 v[6:7], s[0:1], s24, v8, 0
	v_add3_u32 v7, v7, v13, v12
	v_sub_u32_e32 v12, v11, v7
	v_mov_b32_e32 v13, s25
	v_sub_co_u32_e32 v6, vcc, v10, v6
	v_subb_co_u32_e64 v10, s[0:1], v12, v13, vcc
	v_subrev_co_u32_e64 v12, s[0:1], s24, v6
	v_subbrev_co_u32_e64 v10, s[0:1], 0, v10, s[0:1]
	v_cmp_le_u32_e64 s[0:1], s25, v10
	v_cndmask_b32_e64 v13, 0, -1, s[0:1]
	v_cmp_le_u32_e64 s[0:1], s24, v12
	v_cndmask_b32_e64 v12, 0, -1, s[0:1]
	v_cmp_eq_u32_e64 s[0:1], s25, v10
	v_cndmask_b32_e64 v10, v13, v12, s[0:1]
	v_add_co_u32_e64 v12, s[0:1], 2, v8
	v_subb_co_u32_e32 v7, vcc, v11, v7, vcc
	v_addc_co_u32_e64 v13, s[0:1], 0, v9, s[0:1]
	v_cmp_le_u32_e32 vcc, s25, v7
	v_add_co_u32_e64 v14, s[0:1], 1, v8
	v_cndmask_b32_e64 v11, 0, -1, vcc
	v_cmp_le_u32_e32 vcc, s24, v6
	v_addc_co_u32_e64 v15, s[0:1], 0, v9, s[0:1]
	v_cndmask_b32_e64 v6, 0, -1, vcc
	v_cmp_eq_u32_e32 vcc, s25, v7
	v_cmp_ne_u32_e64 s[0:1], 0, v10
	v_cndmask_b32_e32 v6, v11, v6, vcc
	v_cmp_ne_u32_e32 vcc, 0, v6
	v_cndmask_b32_e64 v7, v14, v12, s[0:1]
	v_cndmask_b32_e64 v10, v15, v13, s[0:1]
	v_cndmask_b32_e32 v7, v8, v7, vcc
	v_cndmask_b32_e32 v6, v9, v10, vcc
	v_xor_b32_e32 v7, v7, v3
	v_xor_b32_e32 v6, v6, v3
	v_sub_co_u32_e32 v8, vcc, v7, v3
	v_subb_co_u32_e32 v9, vcc, v6, v3, vcc
                                        ; implicit-def: $vgpr6_vgpr7
.LBB9_9:                                ;   in Loop: Header=BB9_3 Depth=1
	s_andn2_saveexec_b64 s[0:1], s[2:3]
	s_cbranch_execz .LBB9_2
; %bb.10:                               ;   in Loop: Header=BB9_3 Depth=1
	v_cvt_f32_u32_e32 v3, s6
	s_sub_i32 s2, 0, s6
	v_mov_b32_e32 v9, v2
	v_rcp_iflag_f32_e32 v3, v3
	v_mul_f32_e32 v3, 0x4f7ffffe, v3
	v_cvt_u32_f32_e32 v3, v3
	v_mul_lo_u32 v7, s2, v3
	v_mul_hi_u32 v7, v3, v7
	v_add_u32_e32 v3, v3, v7
	v_mul_hi_u32 v3, v6, v3
	v_mul_lo_u32 v7, v3, s6
	v_add_u32_e32 v8, 1, v3
	v_sub_u32_e32 v6, v6, v7
	v_subrev_u32_e32 v7, s6, v6
	v_cmp_le_u32_e32 vcc, s6, v6
	v_cndmask_b32_e32 v6, v6, v7, vcc
	v_cndmask_b32_e32 v3, v3, v8, vcc
	v_add_u32_e32 v7, 1, v3
	v_cmp_le_u32_e32 vcc, s6, v6
	v_cndmask_b32_e32 v8, v3, v7, vcc
	s_branch .LBB9_2
.LBB9_11:
	s_endpgm
	.section	.rodata,"a",@progbits
	.p2align	6, 0x0
	.amdhsa_kernel _ZN2at6native16roll_cuda_kernelIN3c104HalfEEEvPKT_PS4_llllll
		.amdhsa_group_segment_fixed_size 0
		.amdhsa_private_segment_fixed_size 0
		.amdhsa_kernarg_size 320
		.amdhsa_user_sgpr_count 6
		.amdhsa_user_sgpr_private_segment_buffer 1
		.amdhsa_user_sgpr_dispatch_ptr 0
		.amdhsa_user_sgpr_queue_ptr 0
		.amdhsa_user_sgpr_kernarg_segment_ptr 1
		.amdhsa_user_sgpr_dispatch_id 0
		.amdhsa_user_sgpr_flat_scratch_init 0
		.amdhsa_user_sgpr_private_segment_size 0
		.amdhsa_uses_dynamic_stack 0
		.amdhsa_system_sgpr_private_segment_wavefront_offset 0
		.amdhsa_system_sgpr_workgroup_id_x 1
		.amdhsa_system_sgpr_workgroup_id_y 0
		.amdhsa_system_sgpr_workgroup_id_z 0
		.amdhsa_system_sgpr_workgroup_info 0
		.amdhsa_system_vgpr_workitem_id 0
		.amdhsa_next_free_vgpr 16
		.amdhsa_next_free_sgpr 38
		.amdhsa_reserve_vcc 1
		.amdhsa_reserve_flat_scratch 0
		.amdhsa_float_round_mode_32 0
		.amdhsa_float_round_mode_16_64 0
		.amdhsa_float_denorm_mode_32 3
		.amdhsa_float_denorm_mode_16_64 3
		.amdhsa_dx10_clamp 1
		.amdhsa_ieee_mode 1
		.amdhsa_fp16_overflow 0
		.amdhsa_exception_fp_ieee_invalid_op 0
		.amdhsa_exception_fp_denorm_src 0
		.amdhsa_exception_fp_ieee_div_zero 0
		.amdhsa_exception_fp_ieee_overflow 0
		.amdhsa_exception_fp_ieee_underflow 0
		.amdhsa_exception_fp_ieee_inexact 0
		.amdhsa_exception_int_div_zero 0
	.end_amdhsa_kernel
	.section	.text._ZN2at6native16roll_cuda_kernelIN3c104HalfEEEvPKT_PS4_llllll,"axG",@progbits,_ZN2at6native16roll_cuda_kernelIN3c104HalfEEEvPKT_PS4_llllll,comdat
.Lfunc_end9:
	.size	_ZN2at6native16roll_cuda_kernelIN3c104HalfEEEvPKT_PS4_llllll, .Lfunc_end9-_ZN2at6native16roll_cuda_kernelIN3c104HalfEEEvPKT_PS4_llllll
                                        ; -- End function
	.set _ZN2at6native16roll_cuda_kernelIN3c104HalfEEEvPKT_PS4_llllll.num_vgpr, 16
	.set _ZN2at6native16roll_cuda_kernelIN3c104HalfEEEvPKT_PS4_llllll.num_agpr, 0
	.set _ZN2at6native16roll_cuda_kernelIN3c104HalfEEEvPKT_PS4_llllll.numbered_sgpr, 38
	.set _ZN2at6native16roll_cuda_kernelIN3c104HalfEEEvPKT_PS4_llllll.num_named_barrier, 0
	.set _ZN2at6native16roll_cuda_kernelIN3c104HalfEEEvPKT_PS4_llllll.private_seg_size, 0
	.set _ZN2at6native16roll_cuda_kernelIN3c104HalfEEEvPKT_PS4_llllll.uses_vcc, 1
	.set _ZN2at6native16roll_cuda_kernelIN3c104HalfEEEvPKT_PS4_llllll.uses_flat_scratch, 0
	.set _ZN2at6native16roll_cuda_kernelIN3c104HalfEEEvPKT_PS4_llllll.has_dyn_sized_stack, 0
	.set _ZN2at6native16roll_cuda_kernelIN3c104HalfEEEvPKT_PS4_llllll.has_recursion, 0
	.set _ZN2at6native16roll_cuda_kernelIN3c104HalfEEEvPKT_PS4_llllll.has_indirect_call, 0
	.section	.AMDGPU.csdata,"",@progbits
; Kernel info:
; codeLenInByte = 1812
; TotalNumSgprs: 42
; NumVgprs: 16
; ScratchSize: 0
; MemoryBound: 0
; FloatMode: 240
; IeeeMode: 1
; LDSByteSize: 0 bytes/workgroup (compile time only)
; SGPRBlocks: 5
; VGPRBlocks: 3
; NumSGPRsForWavesPerEU: 42
; NumVGPRsForWavesPerEU: 16
; Occupancy: 10
; WaveLimiterHint : 0
; COMPUTE_PGM_RSRC2:SCRATCH_EN: 0
; COMPUTE_PGM_RSRC2:USER_SGPR: 6
; COMPUTE_PGM_RSRC2:TRAP_HANDLER: 0
; COMPUTE_PGM_RSRC2:TGID_X_EN: 1
; COMPUTE_PGM_RSRC2:TGID_Y_EN: 0
; COMPUTE_PGM_RSRC2:TGID_Z_EN: 0
; COMPUTE_PGM_RSRC2:TIDIG_COMP_CNT: 0
	.section	.text._ZN2at6native16roll_cuda_kernelIbEEvPKT_PS2_llllll,"axG",@progbits,_ZN2at6native16roll_cuda_kernelIbEEvPKT_PS2_llllll,comdat
	.protected	_ZN2at6native16roll_cuda_kernelIbEEvPKT_PS2_llllll ; -- Begin function _ZN2at6native16roll_cuda_kernelIbEEvPKT_PS2_llllll
	.globl	_ZN2at6native16roll_cuda_kernelIbEEvPKT_PS2_llllll
	.p2align	8
	.type	_ZN2at6native16roll_cuda_kernelIbEEvPKT_PS2_llllll,@function
_ZN2at6native16roll_cuda_kernelIbEEvPKT_PS2_llllll: ; @_ZN2at6native16roll_cuda_kernelIbEEvPKT_PS2_llllll
; %bb.0:
	s_load_dword s2, s[4:5], 0x4c
	s_load_dwordx2 s[12:13], s[4:5], 0x10
	s_add_u32 s0, s4, 64
	v_mov_b32_e32 v2, 0
	s_addc_u32 s1, s5, 0
	s_waitcnt lgkmcnt(0)
	s_and_b32 s2, s2, 0xffff
	v_mov_b32_e32 v1, v2
	v_mov_b32_e32 v3, s6
	v_mad_u64_u32 v[0:1], s[6:7], s2, v3, v[0:1]
	v_cmp_gt_i64_e32 vcc, s[12:13], v[0:1]
	s_and_saveexec_b64 s[6:7], vcc
	s_cbranch_execz .LBB10_11
; %bb.1:
	s_load_dwordx2 s[6:7], s[4:5], 0x30
	s_load_dwordx4 s[16:19], s[4:5], 0x20
	s_load_dwordx4 s[8:11], s[4:5], 0x0
	s_load_dword s3, s[0:1], 0x0
	s_waitcnt lgkmcnt(0)
	s_mul_i32 s0, s6, s19
	s_mul_hi_u32 s1, s6, s18
	s_add_i32 s0, s1, s0
	s_mul_i32 s1, s7, s18
	s_add_i32 s22, s0, s1
	s_sub_u32 s4, s18, s16
	s_subb_u32 s5, s19, s17
	s_mul_i32 s0, s4, s7
	s_mul_hi_u32 s1, s4, s6
	s_mul_i32 s14, s6, s17
	s_mul_hi_u32 s15, s6, s16
	s_add_i32 s0, s1, s0
	s_mul_i32 s1, s5, s6
	s_add_i32 s14, s15, s14
	s_mul_i32 s15, s7, s16
	;; [unrolled: 2-line block ×3, first 2 shown]
	s_add_i32 s24, s14, s15
	s_sub_u32 s27, 0, s1
	s_mul_i32 s23, s6, s18
	s_mul_i32 s25, s6, s16
	;; [unrolled: 1-line block ×3, first 2 shown]
	s_mov_b64 s[14:15], 0
	s_subb_u32 s28, 0, s0
	s_ashr_i32 s16, s22, 31
	s_branch .LBB10_3
.LBB10_2:                               ;   in Loop: Header=BB10_3 Depth=1
	s_or_b64 exec, exec, s[0:1]
	v_cmp_gt_i64_e32 vcc, s[4:5], v[6:7]
	v_mov_b32_e32 v3, s28
	v_mov_b32_e32 v4, s24
	v_cndmask_b32_e32 v3, v3, v4, vcc
	v_mov_b32_e32 v4, s27
	v_mov_b32_e32 v5, s25
	v_cndmask_b32_e32 v4, v4, v5, vcc
	v_add_co_u32_e32 v4, vcc, v4, v0
	v_addc_co_u32_e32 v5, vcc, v3, v1, vcc
	v_mov_b32_e32 v6, s9
	v_add_co_u32_e32 v3, vcc, s8, v4
	v_addc_co_u32_e32 v4, vcc, v6, v5, vcc
	global_load_ubyte v5, v[3:4], off
	v_mov_b32_e32 v4, s11
	v_add_co_u32_e32 v3, vcc, s10, v0
	v_addc_co_u32_e32 v4, vcc, v4, v1, vcc
	v_add_co_u32_e32 v0, vcc, s26, v0
	v_addc_co_u32_e32 v1, vcc, 0, v1, vcc
	v_cmp_le_i64_e32 vcc, s[12:13], v[0:1]
	s_or_b64 s[14:15], vcc, s[14:15]
	s_waitcnt vmcnt(0)
	global_store_byte v[3:4], v5, off
	s_andn2_b64 exec, exec, s[14:15]
	s_cbranch_execz .LBB10_11
.LBB10_3:                               ; =>This Inner Loop Header: Depth=1
	v_or_b32_e32 v3, s22, v1
	v_cmp_ne_u64_e32 vcc, 0, v[2:3]
                                        ; implicit-def: $vgpr4_vgpr5
	s_and_saveexec_b64 s[0:1], vcc
	s_xor_b64 s[18:19], exec, s[0:1]
	s_cbranch_execz .LBB10_5
; %bb.4:                                ;   in Loop: Header=BB10_3 Depth=1
	s_add_u32 s0, s23, s16
	s_mov_b32 s17, s16
	s_addc_u32 s1, s22, s16
	s_xor_b64 s[20:21], s[0:1], s[16:17]
	v_cvt_f32_u32_e32 v3, s20
	v_cvt_f32_u32_e32 v4, s21
	s_sub_u32 s2, 0, s20
	s_subb_u32 s3, 0, s21
	v_ashrrev_i32_e32 v7, 31, v1
	v_mac_f32_e32 v3, 0x4f800000, v4
	v_rcp_f32_e32 v3, v3
	v_mul_f32_e32 v3, 0x5f7ffffc, v3
	v_mul_f32_e32 v4, 0x2f800000, v3
	v_trunc_f32_e32 v4, v4
	v_mac_f32_e32 v3, 0xcf800000, v4
	v_cvt_u32_f32_e32 v4, v4
	v_cvt_u32_f32_e32 v3, v3
	v_readfirstlane_b32 s17, v4
	v_readfirstlane_b32 s0, v3
	s_mul_i32 s1, s2, s17
	s_mul_hi_u32 s30, s2, s0
	s_mul_i32 s29, s3, s0
	s_add_i32 s1, s30, s1
	s_add_i32 s1, s1, s29
	s_mul_i32 s31, s2, s0
	s_mul_i32 s30, s0, s1
	s_mul_hi_u32 s33, s0, s31
	s_mul_hi_u32 s29, s0, s1
	s_add_u32 s30, s33, s30
	s_addc_u32 s29, 0, s29
	s_mul_hi_u32 s34, s17, s31
	s_mul_i32 s31, s17, s31
	s_add_u32 s30, s30, s31
	s_mul_hi_u32 s33, s17, s1
	s_addc_u32 s29, s29, s34
	s_addc_u32 s30, s33, 0
	s_mul_i32 s1, s17, s1
	s_add_u32 s1, s29, s1
	s_addc_u32 s29, 0, s30
	s_add_u32 s30, s0, s1
	s_cselect_b64 s[0:1], -1, 0
	s_cmp_lg_u64 s[0:1], 0
	s_addc_u32 s17, s17, s29
	s_mul_i32 s0, s2, s17
	s_mul_hi_u32 s1, s2, s30
	s_add_i32 s0, s1, s0
	s_mul_i32 s3, s3, s30
	s_add_i32 s0, s0, s3
	s_mul_i32 s2, s2, s30
	s_mul_hi_u32 s3, s17, s2
	s_mul_i32 s29, s17, s2
	s_mul_i32 s33, s30, s0
	s_mul_hi_u32 s2, s30, s2
	s_mul_hi_u32 s31, s30, s0
	s_add_u32 s2, s2, s33
	s_addc_u32 s31, 0, s31
	s_add_u32 s2, s2, s29
	s_mul_hi_u32 s1, s17, s0
	s_addc_u32 s2, s31, s3
	s_addc_u32 s1, s1, 0
	s_mul_i32 s0, s17, s0
	s_add_u32 s0, s2, s0
	s_addc_u32 s2, 0, s1
	s_add_u32 s3, s30, s0
	s_cselect_b64 s[0:1], -1, 0
	s_cmp_lg_u64 s[0:1], 0
	v_add_co_u32_e32 v3, vcc, v0, v7
	s_addc_u32 s2, s17, s2
	v_xor_b32_e32 v8, v3, v7
	v_mad_u64_u32 v[3:4], s[0:1], v8, s2, 0
	v_mul_hi_u32 v6, v8, s3
	v_addc_co_u32_e32 v5, vcc, v1, v7, vcc
	v_xor_b32_e32 v9, v5, v7
	v_add_co_u32_e32 v10, vcc, v6, v3
	v_addc_co_u32_e32 v11, vcc, 0, v4, vcc
	v_mad_u64_u32 v[3:4], s[0:1], v9, s3, 0
	v_mad_u64_u32 v[5:6], s[0:1], v9, s2, 0
	v_add_co_u32_e32 v3, vcc, v10, v3
	v_addc_co_u32_e32 v3, vcc, v11, v4, vcc
	v_addc_co_u32_e32 v4, vcc, 0, v6, vcc
	v_add_co_u32_e32 v3, vcc, v3, v5
	v_addc_co_u32_e32 v4, vcc, 0, v4, vcc
	v_mul_lo_u32 v5, s21, v3
	v_mul_lo_u32 v6, s20, v4
	v_mad_u64_u32 v[3:4], s[0:1], s20, v3, 0
	v_add3_u32 v4, v4, v6, v5
	v_sub_u32_e32 v5, v9, v4
	v_mov_b32_e32 v6, s21
	v_sub_co_u32_e32 v3, vcc, v8, v3
	v_subb_co_u32_e64 v5, s[0:1], v5, v6, vcc
	v_subrev_co_u32_e64 v8, s[0:1], s20, v3
	v_subbrev_co_u32_e64 v10, s[2:3], 0, v5, s[0:1]
	v_cmp_le_u32_e64 s[2:3], s21, v10
	v_cndmask_b32_e64 v11, 0, -1, s[2:3]
	v_cmp_le_u32_e64 s[2:3], s20, v8
	v_subb_co_u32_e64 v5, s[0:1], v5, v6, s[0:1]
	v_cndmask_b32_e64 v12, 0, -1, s[2:3]
	v_cmp_eq_u32_e64 s[2:3], s21, v10
	v_subrev_co_u32_e64 v6, s[0:1], s20, v8
	v_subb_co_u32_e32 v4, vcc, v9, v4, vcc
	v_cndmask_b32_e64 v11, v11, v12, s[2:3]
	v_subbrev_co_u32_e64 v5, s[0:1], 0, v5, s[0:1]
	v_cmp_le_u32_e32 vcc, s21, v4
	v_cmp_ne_u32_e64 s[0:1], 0, v11
	v_cndmask_b32_e64 v9, 0, -1, vcc
	v_cmp_le_u32_e32 vcc, s20, v3
	v_cndmask_b32_e64 v5, v10, v5, s[0:1]
	v_cndmask_b32_e64 v10, 0, -1, vcc
	v_cmp_eq_u32_e32 vcc, s21, v4
	v_cndmask_b32_e32 v9, v9, v10, vcc
	v_cmp_ne_u32_e32 vcc, 0, v9
	v_cndmask_b32_e32 v4, v4, v5, vcc
	v_cndmask_b32_e64 v5, v8, v6, s[0:1]
	v_cndmask_b32_e32 v3, v3, v5, vcc
	v_xor_b32_e32 v3, v3, v7
	v_xor_b32_e32 v5, v4, v7
	v_sub_co_u32_e32 v4, vcc, v3, v7
	v_subb_co_u32_e32 v5, vcc, v5, v7, vcc
.LBB10_5:                               ;   in Loop: Header=BB10_3 Depth=1
	s_andn2_saveexec_b64 s[0:1], s[18:19]
	s_cbranch_execz .LBB10_7
; %bb.6:                                ;   in Loop: Header=BB10_3 Depth=1
	v_cvt_f32_u32_e32 v3, s23
	s_sub_i32 s2, 0, s23
	v_mov_b32_e32 v5, v2
	v_rcp_iflag_f32_e32 v3, v3
	v_mul_f32_e32 v3, 0x4f7ffffe, v3
	v_cvt_u32_f32_e32 v3, v3
	v_mul_lo_u32 v4, s2, v3
	v_mul_hi_u32 v4, v3, v4
	v_add_u32_e32 v3, v3, v4
	v_mul_hi_u32 v3, v0, v3
	v_mul_lo_u32 v3, v3, s23
	v_sub_u32_e32 v3, v0, v3
	v_subrev_u32_e32 v4, s23, v3
	v_cmp_le_u32_e32 vcc, s23, v3
	v_cndmask_b32_e32 v3, v3, v4, vcc
	v_subrev_u32_e32 v4, s23, v3
	v_cmp_le_u32_e32 vcc, s23, v3
	v_cndmask_b32_e32 v4, v3, v4, vcc
.LBB10_7:                               ;   in Loop: Header=BB10_3 Depth=1
	s_or_b64 exec, exec, s[0:1]
	v_or_b32_e32 v3, s7, v5
	v_cmp_ne_u64_e32 vcc, 0, v[2:3]
                                        ; implicit-def: $vgpr6_vgpr7
	s_and_saveexec_b64 s[0:1], vcc
	s_xor_b64 s[2:3], exec, s[0:1]
	s_cbranch_execz .LBB10_9
; %bb.8:                                ;   in Loop: Header=BB10_3 Depth=1
	s_ashr_i32 s18, s7, 31
	s_add_u32 s0, s6, s18
	s_mov_b32 s19, s18
	s_addc_u32 s1, s7, s18
	s_xor_b64 s[20:21], s[0:1], s[18:19]
	v_cvt_f32_u32_e32 v3, s20
	v_cvt_f32_u32_e32 v6, s21
	s_sub_u32 s17, 0, s20
	s_subb_u32 s19, 0, s21
	v_ashrrev_i32_e32 v7, 31, v5
	v_mac_f32_e32 v3, 0x4f800000, v6
	v_rcp_f32_e32 v3, v3
	v_mul_f32_e32 v3, 0x5f7ffffc, v3
	v_mul_f32_e32 v6, 0x2f800000, v3
	v_trunc_f32_e32 v6, v6
	v_mac_f32_e32 v3, 0xcf800000, v6
	v_cvt_u32_f32_e32 v6, v6
	v_cvt_u32_f32_e32 v3, v3
	v_readfirstlane_b32 s29, v6
	v_readfirstlane_b32 s0, v3
	s_mul_i32 s1, s17, s29
	s_mul_hi_u32 s31, s17, s0
	s_mul_i32 s30, s19, s0
	s_add_i32 s1, s31, s1
	s_add_i32 s1, s1, s30
	s_mul_i32 s33, s17, s0
	s_mul_i32 s31, s0, s1
	s_mul_hi_u32 s34, s0, s33
	s_mul_hi_u32 s30, s0, s1
	s_add_u32 s31, s34, s31
	s_addc_u32 s30, 0, s30
	s_mul_hi_u32 s35, s29, s33
	s_mul_i32 s33, s29, s33
	s_add_u32 s31, s31, s33
	s_mul_hi_u32 s34, s29, s1
	s_addc_u32 s30, s30, s35
	s_addc_u32 s31, s34, 0
	s_mul_i32 s1, s29, s1
	s_add_u32 s1, s30, s1
	s_addc_u32 s30, 0, s31
	s_add_u32 s31, s0, s1
	s_cselect_b64 s[0:1], -1, 0
	s_cmp_lg_u64 s[0:1], 0
	s_addc_u32 s29, s29, s30
	s_mul_i32 s0, s17, s29
	s_mul_hi_u32 s1, s17, s31
	s_add_i32 s0, s1, s0
	s_mul_i32 s19, s19, s31
	s_add_i32 s0, s0, s19
	s_mul_i32 s17, s17, s31
	s_mul_hi_u32 s19, s29, s17
	s_mul_i32 s30, s29, s17
	s_mul_i32 s34, s31, s0
	s_mul_hi_u32 s17, s31, s17
	s_mul_hi_u32 s33, s31, s0
	s_add_u32 s17, s17, s34
	s_addc_u32 s33, 0, s33
	s_add_u32 s17, s17, s30
	s_mul_hi_u32 s1, s29, s0
	s_addc_u32 s17, s33, s19
	s_addc_u32 s1, s1, 0
	s_mul_i32 s0, s29, s0
	s_add_u32 s0, s17, s0
	s_addc_u32 s17, 0, s1
	s_add_u32 s19, s31, s0
	s_cselect_b64 s[0:1], -1, 0
	s_cmp_lg_u64 s[0:1], 0
	v_add_co_u32_e32 v3, vcc, v4, v7
	s_addc_u32 s17, s29, s17
	v_xor_b32_e32 v8, v3, v7
	v_mad_u64_u32 v[3:4], s[0:1], v8, s17, 0
	v_mul_hi_u32 v6, v8, s19
	v_addc_co_u32_e32 v5, vcc, v5, v7, vcc
	v_xor_b32_e32 v9, v5, v7
	v_add_co_u32_e32 v10, vcc, v6, v3
	v_addc_co_u32_e32 v11, vcc, 0, v4, vcc
	v_mad_u64_u32 v[3:4], s[0:1], v9, s19, 0
	v_mad_u64_u32 v[5:6], s[0:1], v9, s17, 0
	v_add_co_u32_e32 v3, vcc, v10, v3
	v_addc_co_u32_e32 v3, vcc, v11, v4, vcc
	v_addc_co_u32_e32 v4, vcc, 0, v6, vcc
	v_add_co_u32_e32 v5, vcc, v3, v5
	v_addc_co_u32_e32 v6, vcc, 0, v4, vcc
	v_mul_lo_u32 v10, s21, v5
	v_mul_lo_u32 v11, s20, v6
	v_mad_u64_u32 v[3:4], s[0:1], s20, v5, 0
	v_add3_u32 v4, v4, v11, v10
	v_sub_u32_e32 v10, v9, v4
	v_mov_b32_e32 v11, s21
	v_sub_co_u32_e32 v3, vcc, v8, v3
	v_subb_co_u32_e64 v8, s[0:1], v10, v11, vcc
	v_subrev_co_u32_e64 v10, s[0:1], s20, v3
	v_subbrev_co_u32_e64 v8, s[0:1], 0, v8, s[0:1]
	v_cmp_le_u32_e64 s[0:1], s21, v8
	v_cndmask_b32_e64 v11, 0, -1, s[0:1]
	v_cmp_le_u32_e64 s[0:1], s20, v10
	v_cndmask_b32_e64 v10, 0, -1, s[0:1]
	v_cmp_eq_u32_e64 s[0:1], s21, v8
	v_cndmask_b32_e64 v8, v11, v10, s[0:1]
	v_add_co_u32_e64 v10, s[0:1], 2, v5
	v_subb_co_u32_e32 v4, vcc, v9, v4, vcc
	v_addc_co_u32_e64 v11, s[0:1], 0, v6, s[0:1]
	v_cmp_le_u32_e32 vcc, s21, v4
	v_add_co_u32_e64 v12, s[0:1], 1, v5
	v_cndmask_b32_e64 v9, 0, -1, vcc
	v_cmp_le_u32_e32 vcc, s20, v3
	v_addc_co_u32_e64 v13, s[0:1], 0, v6, s[0:1]
	v_cndmask_b32_e64 v3, 0, -1, vcc
	v_cmp_eq_u32_e32 vcc, s21, v4
	v_cmp_ne_u32_e64 s[0:1], 0, v8
	v_cndmask_b32_e32 v3, v9, v3, vcc
	v_cmp_ne_u32_e32 vcc, 0, v3
	v_cndmask_b32_e64 v4, v12, v10, s[0:1]
	v_cndmask_b32_e64 v8, v13, v11, s[0:1]
	v_cndmask_b32_e32 v4, v5, v4, vcc
	v_xor_b32_e32 v5, s18, v7
	v_cndmask_b32_e32 v3, v6, v8, vcc
	v_xor_b32_e32 v4, v4, v5
	v_xor_b32_e32 v3, v3, v5
	v_sub_co_u32_e32 v6, vcc, v4, v5
	v_subb_co_u32_e32 v7, vcc, v3, v5, vcc
                                        ; implicit-def: $vgpr4_vgpr5
.LBB10_9:                               ;   in Loop: Header=BB10_3 Depth=1
	s_andn2_saveexec_b64 s[0:1], s[2:3]
	s_cbranch_execz .LBB10_2
; %bb.10:                               ;   in Loop: Header=BB10_3 Depth=1
	v_cvt_f32_u32_e32 v3, s6
	s_sub_i32 s2, 0, s6
	v_mov_b32_e32 v7, v2
	v_rcp_iflag_f32_e32 v3, v3
	v_mul_f32_e32 v3, 0x4f7ffffe, v3
	v_cvt_u32_f32_e32 v3, v3
	v_mul_lo_u32 v5, s2, v3
	v_mul_hi_u32 v5, v3, v5
	v_add_u32_e32 v3, v3, v5
	v_mul_hi_u32 v3, v4, v3
	v_mul_lo_u32 v5, v3, s6
	v_add_u32_e32 v6, 1, v3
	v_sub_u32_e32 v4, v4, v5
	v_subrev_u32_e32 v5, s6, v4
	v_cmp_le_u32_e32 vcc, s6, v4
	v_cndmask_b32_e32 v4, v4, v5, vcc
	v_cndmask_b32_e32 v3, v3, v6, vcc
	v_add_u32_e32 v5, 1, v3
	v_cmp_le_u32_e32 vcc, s6, v4
	v_cndmask_b32_e32 v6, v3, v5, vcc
	s_branch .LBB10_2
.LBB10_11:
	s_endpgm
	.section	.rodata,"a",@progbits
	.p2align	6, 0x0
	.amdhsa_kernel _ZN2at6native16roll_cuda_kernelIbEEvPKT_PS2_llllll
		.amdhsa_group_segment_fixed_size 0
		.amdhsa_private_segment_fixed_size 0
		.amdhsa_kernarg_size 320
		.amdhsa_user_sgpr_count 6
		.amdhsa_user_sgpr_private_segment_buffer 1
		.amdhsa_user_sgpr_dispatch_ptr 0
		.amdhsa_user_sgpr_queue_ptr 0
		.amdhsa_user_sgpr_kernarg_segment_ptr 1
		.amdhsa_user_sgpr_dispatch_id 0
		.amdhsa_user_sgpr_flat_scratch_init 0
		.amdhsa_user_sgpr_private_segment_size 0
		.amdhsa_uses_dynamic_stack 0
		.amdhsa_system_sgpr_private_segment_wavefront_offset 0
		.amdhsa_system_sgpr_workgroup_id_x 1
		.amdhsa_system_sgpr_workgroup_id_y 0
		.amdhsa_system_sgpr_workgroup_id_z 0
		.amdhsa_system_sgpr_workgroup_info 0
		.amdhsa_system_vgpr_workitem_id 0
		.amdhsa_next_free_vgpr 14
		.amdhsa_next_free_sgpr 36
		.amdhsa_reserve_vcc 1
		.amdhsa_reserve_flat_scratch 0
		.amdhsa_float_round_mode_32 0
		.amdhsa_float_round_mode_16_64 0
		.amdhsa_float_denorm_mode_32 3
		.amdhsa_float_denorm_mode_16_64 3
		.amdhsa_dx10_clamp 1
		.amdhsa_ieee_mode 1
		.amdhsa_fp16_overflow 0
		.amdhsa_exception_fp_ieee_invalid_op 0
		.amdhsa_exception_fp_denorm_src 0
		.amdhsa_exception_fp_ieee_div_zero 0
		.amdhsa_exception_fp_ieee_overflow 0
		.amdhsa_exception_fp_ieee_underflow 0
		.amdhsa_exception_fp_ieee_inexact 0
		.amdhsa_exception_int_div_zero 0
	.end_amdhsa_kernel
	.section	.text._ZN2at6native16roll_cuda_kernelIbEEvPKT_PS2_llllll,"axG",@progbits,_ZN2at6native16roll_cuda_kernelIbEEvPKT_PS2_llllll,comdat
.Lfunc_end10:
	.size	_ZN2at6native16roll_cuda_kernelIbEEvPKT_PS2_llllll, .Lfunc_end10-_ZN2at6native16roll_cuda_kernelIbEEvPKT_PS2_llllll
                                        ; -- End function
	.set _ZN2at6native16roll_cuda_kernelIbEEvPKT_PS2_llllll.num_vgpr, 14
	.set _ZN2at6native16roll_cuda_kernelIbEEvPKT_PS2_llllll.num_agpr, 0
	.set _ZN2at6native16roll_cuda_kernelIbEEvPKT_PS2_llllll.numbered_sgpr, 36
	.set _ZN2at6native16roll_cuda_kernelIbEEvPKT_PS2_llllll.num_named_barrier, 0
	.set _ZN2at6native16roll_cuda_kernelIbEEvPKT_PS2_llllll.private_seg_size, 0
	.set _ZN2at6native16roll_cuda_kernelIbEEvPKT_PS2_llllll.uses_vcc, 1
	.set _ZN2at6native16roll_cuda_kernelIbEEvPKT_PS2_llllll.uses_flat_scratch, 0
	.set _ZN2at6native16roll_cuda_kernelIbEEvPKT_PS2_llllll.has_dyn_sized_stack, 0
	.set _ZN2at6native16roll_cuda_kernelIbEEvPKT_PS2_llllll.has_recursion, 0
	.set _ZN2at6native16roll_cuda_kernelIbEEvPKT_PS2_llllll.has_indirect_call, 0
	.section	.AMDGPU.csdata,"",@progbits
; Kernel info:
; codeLenInByte = 1768
; TotalNumSgprs: 40
; NumVgprs: 14
; ScratchSize: 0
; MemoryBound: 0
; FloatMode: 240
; IeeeMode: 1
; LDSByteSize: 0 bytes/workgroup (compile time only)
; SGPRBlocks: 4
; VGPRBlocks: 3
; NumSGPRsForWavesPerEU: 40
; NumVGPRsForWavesPerEU: 14
; Occupancy: 10
; WaveLimiterHint : 0
; COMPUTE_PGM_RSRC2:SCRATCH_EN: 0
; COMPUTE_PGM_RSRC2:USER_SGPR: 6
; COMPUTE_PGM_RSRC2:TRAP_HANDLER: 0
; COMPUTE_PGM_RSRC2:TGID_X_EN: 1
; COMPUTE_PGM_RSRC2:TGID_Y_EN: 0
; COMPUTE_PGM_RSRC2:TGID_Z_EN: 0
; COMPUTE_PGM_RSRC2:TIDIG_COMP_CNT: 0
	.section	.text._ZN2at6native16roll_cuda_kernelIN3c108BFloat16EEEvPKT_PS4_llllll,"axG",@progbits,_ZN2at6native16roll_cuda_kernelIN3c108BFloat16EEEvPKT_PS4_llllll,comdat
	.protected	_ZN2at6native16roll_cuda_kernelIN3c108BFloat16EEEvPKT_PS4_llllll ; -- Begin function _ZN2at6native16roll_cuda_kernelIN3c108BFloat16EEEvPKT_PS4_llllll
	.globl	_ZN2at6native16roll_cuda_kernelIN3c108BFloat16EEEvPKT_PS4_llllll
	.p2align	8
	.type	_ZN2at6native16roll_cuda_kernelIN3c108BFloat16EEEvPKT_PS4_llllll,@function
_ZN2at6native16roll_cuda_kernelIN3c108BFloat16EEEvPKT_PS4_llllll: ; @_ZN2at6native16roll_cuda_kernelIN3c108BFloat16EEEvPKT_PS4_llllll
; %bb.0:
	s_load_dword s2, s[4:5], 0x4c
	s_load_dwordx2 s[12:13], s[4:5], 0x10
	s_add_u32 s0, s4, 64
	v_mov_b32_e32 v2, 0
	s_addc_u32 s1, s5, 0
	s_waitcnt lgkmcnt(0)
	s_and_b32 s2, s2, 0xffff
	v_mov_b32_e32 v1, v2
	v_mov_b32_e32 v3, s6
	v_mad_u64_u32 v[0:1], s[6:7], s2, v3, v[0:1]
	v_cmp_gt_i64_e32 vcc, s[12:13], v[0:1]
	s_and_saveexec_b64 s[6:7], vcc
	s_cbranch_execz .LBB11_11
; %bb.1:
	s_load_dwordx2 s[6:7], s[4:5], 0x30
	s_load_dwordx4 s[16:19], s[4:5], 0x20
	s_load_dwordx4 s[8:11], s[4:5], 0x0
	s_load_dword s3, s[0:1], 0x0
	v_lshlrev_b64 v[4:5], 1, v[0:1]
	s_waitcnt lgkmcnt(0)
	s_mul_i32 s0, s6, s19
	s_mul_hi_u32 s1, s6, s18
	s_add_i32 s0, s1, s0
	s_mul_i32 s1, s7, s18
	s_add_i32 s26, s0, s1
	s_sub_u32 s4, s18, s16
	s_subb_u32 s5, s19, s17
	s_mul_i32 s0, s4, s7
	s_mul_hi_u32 s1, s4, s6
	s_mul_i32 s14, s6, s17
	s_mul_hi_u32 s15, s6, s16
	s_add_i32 s0, s1, s0
	s_mul_i32 s1, s5, s6
	s_add_i32 s14, s15, s14
	s_mul_i32 s15, s7, s16
	;; [unrolled: 2-line block ×4, first 2 shown]
	s_mov_b32 s15, 0
	s_sub_u32 s30, 0, s1
	s_mul_i32 s27, s6, s18
	s_mul_i32 s29, s6, s16
	s_mov_b64 s[16:17], 0
	s_subb_u32 s31, 0, s0
	s_lshl_b64 s[18:19], s[14:15], 1
	s_ashr_i32 s20, s26, 31
	s_branch .LBB11_3
.LBB11_2:                               ;   in Loop: Header=BB11_3 Depth=1
	s_or_b64 exec, exec, s[0:1]
	v_cmp_gt_i64_e32 vcc, s[4:5], v[8:9]
	v_mov_b32_e32 v3, s31
	v_mov_b32_e32 v6, s28
	v_cndmask_b32_e32 v7, v3, v6, vcc
	v_mov_b32_e32 v3, s30
	v_mov_b32_e32 v6, s29
	v_cndmask_b32_e32 v6, v3, v6, vcc
	v_lshlrev_b64 v[6:7], 1, v[6:7]
	v_mov_b32_e32 v8, s9
	v_add_co_u32_e32 v3, vcc, v4, v6
	v_addc_co_u32_e32 v7, vcc, v5, v7, vcc
	v_add_co_u32_e32 v6, vcc, s8, v3
	v_addc_co_u32_e32 v7, vcc, v8, v7, vcc
	global_load_ushort v3, v[6:7], off
	v_add_co_u32_e32 v0, vcc, s14, v0
	v_addc_co_u32_e32 v1, vcc, 0, v1, vcc
	v_cmp_le_i64_e32 vcc, s[12:13], v[0:1]
	v_mov_b32_e32 v7, s11
	v_mov_b32_e32 v8, s19
	v_add_co_u32_e64 v6, s[0:1], s10, v4
	s_or_b64 s[16:17], vcc, s[16:17]
	v_add_co_u32_e32 v4, vcc, s18, v4
	v_addc_co_u32_e64 v7, s[0:1], v7, v5, s[0:1]
	v_addc_co_u32_e32 v5, vcc, v5, v8, vcc
	s_waitcnt vmcnt(0)
	global_store_short v[6:7], v3, off
	s_andn2_b64 exec, exec, s[16:17]
	s_cbranch_execz .LBB11_11
.LBB11_3:                               ; =>This Inner Loop Header: Depth=1
	v_or_b32_e32 v3, s26, v1
	v_cmp_ne_u64_e32 vcc, 0, v[2:3]
                                        ; implicit-def: $vgpr6_vgpr7
	s_and_saveexec_b64 s[0:1], vcc
	s_xor_b64 s[22:23], exec, s[0:1]
	s_cbranch_execz .LBB11_5
; %bb.4:                                ;   in Loop: Header=BB11_3 Depth=1
	s_add_u32 s0, s27, s20
	s_mov_b32 s21, s20
	s_addc_u32 s1, s26, s20
	s_xor_b64 s[24:25], s[0:1], s[20:21]
	v_cvt_f32_u32_e32 v3, s24
	v_cvt_f32_u32_e32 v6, s25
	s_sub_u32 s2, 0, s24
	s_subb_u32 s3, 0, s25
	v_mac_f32_e32 v3, 0x4f800000, v6
	v_rcp_f32_e32 v3, v3
	v_mul_f32_e32 v3, 0x5f7ffffc, v3
	v_mul_f32_e32 v6, 0x2f800000, v3
	v_trunc_f32_e32 v6, v6
	v_mac_f32_e32 v3, 0xcf800000, v6
	v_cvt_u32_f32_e32 v6, v6
	v_cvt_u32_f32_e32 v3, v3
	v_readfirstlane_b32 s15, v6
	v_readfirstlane_b32 s0, v3
	s_mul_i32 s1, s2, s15
	s_mul_hi_u32 s33, s2, s0
	s_mul_i32 s21, s3, s0
	s_add_i32 s1, s33, s1
	s_add_i32 s1, s1, s21
	s_mul_i32 s34, s2, s0
	s_mul_i32 s33, s0, s1
	s_mul_hi_u32 s35, s0, s34
	s_mul_hi_u32 s21, s0, s1
	s_add_u32 s33, s35, s33
	s_addc_u32 s21, 0, s21
	s_mul_hi_u32 s36, s15, s34
	s_mul_i32 s34, s15, s34
	s_add_u32 s33, s33, s34
	s_mul_hi_u32 s35, s15, s1
	s_addc_u32 s21, s21, s36
	s_addc_u32 s33, s35, 0
	s_mul_i32 s1, s15, s1
	s_add_u32 s1, s21, s1
	s_addc_u32 s21, 0, s33
	s_add_u32 s33, s0, s1
	s_cselect_b64 s[0:1], -1, 0
	s_cmp_lg_u64 s[0:1], 0
	s_addc_u32 s15, s15, s21
	s_mul_i32 s0, s2, s15
	s_mul_hi_u32 s1, s2, s33
	s_add_i32 s0, s1, s0
	s_mul_i32 s3, s3, s33
	s_add_i32 s0, s0, s3
	s_mul_i32 s2, s2, s33
	s_mul_hi_u32 s3, s15, s2
	s_mul_i32 s21, s15, s2
	s_mul_i32 s35, s33, s0
	s_mul_hi_u32 s2, s33, s2
	s_mul_hi_u32 s34, s33, s0
	s_add_u32 s2, s2, s35
	s_addc_u32 s34, 0, s34
	s_add_u32 s2, s2, s21
	s_mul_hi_u32 s1, s15, s0
	s_addc_u32 s2, s34, s3
	s_addc_u32 s1, s1, 0
	s_mul_i32 s0, s15, s0
	s_add_u32 s0, s2, s0
	s_addc_u32 s2, 0, s1
	s_add_u32 s3, s33, s0
	s_cselect_b64 s[0:1], -1, 0
	v_ashrrev_i32_e32 v3, 31, v1
	s_cmp_lg_u64 s[0:1], 0
	v_add_co_u32_e32 v6, vcc, v0, v3
	s_addc_u32 s2, s15, s2
	v_xor_b32_e32 v10, v6, v3
	v_mad_u64_u32 v[6:7], s[0:1], v10, s2, 0
	v_mul_hi_u32 v9, v10, s3
	v_addc_co_u32_e32 v8, vcc, v1, v3, vcc
	v_xor_b32_e32 v11, v8, v3
	v_add_co_u32_e32 v12, vcc, v9, v6
	v_addc_co_u32_e32 v13, vcc, 0, v7, vcc
	v_mad_u64_u32 v[6:7], s[0:1], v11, s3, 0
	v_mad_u64_u32 v[8:9], s[0:1], v11, s2, 0
	v_add_co_u32_e32 v6, vcc, v12, v6
	v_addc_co_u32_e32 v6, vcc, v13, v7, vcc
	v_addc_co_u32_e32 v7, vcc, 0, v9, vcc
	v_add_co_u32_e32 v6, vcc, v6, v8
	v_addc_co_u32_e32 v7, vcc, 0, v7, vcc
	v_mul_lo_u32 v8, s25, v6
	v_mul_lo_u32 v9, s24, v7
	v_mad_u64_u32 v[6:7], s[0:1], s24, v6, 0
	v_add3_u32 v7, v7, v9, v8
	v_sub_u32_e32 v8, v11, v7
	v_mov_b32_e32 v9, s25
	v_sub_co_u32_e32 v6, vcc, v10, v6
	v_subb_co_u32_e64 v8, s[0:1], v8, v9, vcc
	v_subrev_co_u32_e64 v10, s[0:1], s24, v6
	v_subbrev_co_u32_e64 v12, s[2:3], 0, v8, s[0:1]
	v_cmp_le_u32_e64 s[2:3], s25, v12
	v_cndmask_b32_e64 v13, 0, -1, s[2:3]
	v_cmp_le_u32_e64 s[2:3], s24, v10
	v_subb_co_u32_e64 v8, s[0:1], v8, v9, s[0:1]
	v_cndmask_b32_e64 v14, 0, -1, s[2:3]
	v_cmp_eq_u32_e64 s[2:3], s25, v12
	v_subrev_co_u32_e64 v9, s[0:1], s24, v10
	v_subb_co_u32_e32 v7, vcc, v11, v7, vcc
	v_cndmask_b32_e64 v13, v13, v14, s[2:3]
	v_subbrev_co_u32_e64 v8, s[0:1], 0, v8, s[0:1]
	v_cmp_le_u32_e32 vcc, s25, v7
	v_cmp_ne_u32_e64 s[0:1], 0, v13
	v_cndmask_b32_e64 v11, 0, -1, vcc
	v_cmp_le_u32_e32 vcc, s24, v6
	v_cndmask_b32_e64 v8, v12, v8, s[0:1]
	v_cndmask_b32_e64 v12, 0, -1, vcc
	v_cmp_eq_u32_e32 vcc, s25, v7
	v_cndmask_b32_e32 v11, v11, v12, vcc
	v_cmp_ne_u32_e32 vcc, 0, v11
	v_cndmask_b32_e32 v7, v7, v8, vcc
	v_cndmask_b32_e64 v8, v10, v9, s[0:1]
	v_cndmask_b32_e32 v6, v6, v8, vcc
	v_xor_b32_e32 v6, v6, v3
	v_xor_b32_e32 v7, v7, v3
	v_sub_co_u32_e32 v6, vcc, v6, v3
	v_subb_co_u32_e32 v7, vcc, v7, v3, vcc
.LBB11_5:                               ;   in Loop: Header=BB11_3 Depth=1
	s_andn2_saveexec_b64 s[0:1], s[22:23]
	s_cbranch_execz .LBB11_7
; %bb.6:                                ;   in Loop: Header=BB11_3 Depth=1
	v_cvt_f32_u32_e32 v3, s27
	s_sub_i32 s2, 0, s27
	v_mov_b32_e32 v7, v2
	v_rcp_iflag_f32_e32 v3, v3
	v_mul_f32_e32 v3, 0x4f7ffffe, v3
	v_cvt_u32_f32_e32 v3, v3
	v_mul_lo_u32 v6, s2, v3
	v_mul_hi_u32 v6, v3, v6
	v_add_u32_e32 v3, v3, v6
	v_mul_hi_u32 v3, v0, v3
	v_mul_lo_u32 v3, v3, s27
	v_sub_u32_e32 v3, v0, v3
	v_subrev_u32_e32 v6, s27, v3
	v_cmp_le_u32_e32 vcc, s27, v3
	v_cndmask_b32_e32 v3, v3, v6, vcc
	v_subrev_u32_e32 v6, s27, v3
	v_cmp_le_u32_e32 vcc, s27, v3
	v_cndmask_b32_e32 v6, v3, v6, vcc
.LBB11_7:                               ;   in Loop: Header=BB11_3 Depth=1
	s_or_b64 exec, exec, s[0:1]
	v_or_b32_e32 v3, s7, v7
	v_cmp_ne_u64_e32 vcc, 0, v[2:3]
                                        ; implicit-def: $vgpr8_vgpr9
	s_and_saveexec_b64 s[0:1], vcc
	s_xor_b64 s[2:3], exec, s[0:1]
	s_cbranch_execz .LBB11_9
; %bb.8:                                ;   in Loop: Header=BB11_3 Depth=1
	s_ashr_i32 s22, s7, 31
	s_add_u32 s0, s6, s22
	s_mov_b32 s23, s22
	s_addc_u32 s1, s7, s22
	s_xor_b64 s[24:25], s[0:1], s[22:23]
	v_cvt_f32_u32_e32 v3, s24
	v_cvt_f32_u32_e32 v8, s25
	s_sub_u32 s15, 0, s24
	s_subb_u32 s21, 0, s25
	v_mac_f32_e32 v3, 0x4f800000, v8
	v_rcp_f32_e32 v3, v3
	v_mul_f32_e32 v3, 0x5f7ffffc, v3
	v_mul_f32_e32 v8, 0x2f800000, v3
	v_trunc_f32_e32 v8, v8
	v_mac_f32_e32 v3, 0xcf800000, v8
	v_cvt_u32_f32_e32 v8, v8
	v_cvt_u32_f32_e32 v3, v3
	v_readfirstlane_b32 s23, v8
	v_readfirstlane_b32 s0, v3
	s_mul_i32 s1, s15, s23
	s_mul_hi_u32 s34, s15, s0
	s_mul_i32 s33, s21, s0
	s_add_i32 s1, s34, s1
	s_add_i32 s1, s1, s33
	s_mul_i32 s35, s15, s0
	s_mul_i32 s34, s0, s1
	s_mul_hi_u32 s36, s0, s35
	s_mul_hi_u32 s33, s0, s1
	s_add_u32 s34, s36, s34
	s_addc_u32 s33, 0, s33
	s_mul_hi_u32 s37, s23, s35
	s_mul_i32 s35, s23, s35
	s_add_u32 s34, s34, s35
	s_mul_hi_u32 s36, s23, s1
	s_addc_u32 s33, s33, s37
	s_addc_u32 s34, s36, 0
	s_mul_i32 s1, s23, s1
	s_add_u32 s1, s33, s1
	s_addc_u32 s33, 0, s34
	s_add_u32 s34, s0, s1
	s_cselect_b64 s[0:1], -1, 0
	s_cmp_lg_u64 s[0:1], 0
	s_addc_u32 s23, s23, s33
	s_mul_i32 s0, s15, s23
	s_mul_hi_u32 s1, s15, s34
	s_add_i32 s0, s1, s0
	s_mul_i32 s21, s21, s34
	s_add_i32 s0, s0, s21
	s_mul_i32 s15, s15, s34
	s_mul_hi_u32 s21, s23, s15
	s_mul_i32 s33, s23, s15
	s_mul_i32 s36, s34, s0
	s_mul_hi_u32 s15, s34, s15
	s_mul_hi_u32 s35, s34, s0
	s_add_u32 s15, s15, s36
	s_addc_u32 s35, 0, s35
	s_add_u32 s15, s15, s33
	s_mul_hi_u32 s1, s23, s0
	s_addc_u32 s15, s35, s21
	s_addc_u32 s1, s1, 0
	s_mul_i32 s0, s23, s0
	s_add_u32 s0, s15, s0
	s_addc_u32 s15, 0, s1
	s_add_u32 s21, s34, s0
	s_cselect_b64 s[0:1], -1, 0
	v_ashrrev_i32_e32 v3, 31, v7
	s_cmp_lg_u64 s[0:1], 0
	v_add_co_u32_e32 v6, vcc, v6, v3
	s_addc_u32 s15, s23, s15
	v_xor_b32_e32 v10, v6, v3
	v_addc_co_u32_e32 v8, vcc, v7, v3, vcc
	v_mad_u64_u32 v[6:7], s[0:1], v10, s15, 0
	v_mul_hi_u32 v9, v10, s21
	v_xor_b32_e32 v11, v8, v3
	v_xor_b32_e32 v3, s22, v3
	v_add_co_u32_e32 v12, vcc, v9, v6
	v_addc_co_u32_e32 v13, vcc, 0, v7, vcc
	v_mad_u64_u32 v[6:7], s[0:1], v11, s21, 0
	v_mad_u64_u32 v[8:9], s[0:1], v11, s15, 0
	v_add_co_u32_e32 v6, vcc, v12, v6
	v_addc_co_u32_e32 v6, vcc, v13, v7, vcc
	v_addc_co_u32_e32 v7, vcc, 0, v9, vcc
	v_add_co_u32_e32 v8, vcc, v6, v8
	v_addc_co_u32_e32 v9, vcc, 0, v7, vcc
	v_mul_lo_u32 v12, s25, v8
	v_mul_lo_u32 v13, s24, v9
	v_mad_u64_u32 v[6:7], s[0:1], s24, v8, 0
	v_add3_u32 v7, v7, v13, v12
	v_sub_u32_e32 v12, v11, v7
	v_mov_b32_e32 v13, s25
	v_sub_co_u32_e32 v6, vcc, v10, v6
	v_subb_co_u32_e64 v10, s[0:1], v12, v13, vcc
	v_subrev_co_u32_e64 v12, s[0:1], s24, v6
	v_subbrev_co_u32_e64 v10, s[0:1], 0, v10, s[0:1]
	v_cmp_le_u32_e64 s[0:1], s25, v10
	v_cndmask_b32_e64 v13, 0, -1, s[0:1]
	v_cmp_le_u32_e64 s[0:1], s24, v12
	v_cndmask_b32_e64 v12, 0, -1, s[0:1]
	v_cmp_eq_u32_e64 s[0:1], s25, v10
	v_cndmask_b32_e64 v10, v13, v12, s[0:1]
	v_add_co_u32_e64 v12, s[0:1], 2, v8
	v_subb_co_u32_e32 v7, vcc, v11, v7, vcc
	v_addc_co_u32_e64 v13, s[0:1], 0, v9, s[0:1]
	v_cmp_le_u32_e32 vcc, s25, v7
	v_add_co_u32_e64 v14, s[0:1], 1, v8
	v_cndmask_b32_e64 v11, 0, -1, vcc
	v_cmp_le_u32_e32 vcc, s24, v6
	v_addc_co_u32_e64 v15, s[0:1], 0, v9, s[0:1]
	v_cndmask_b32_e64 v6, 0, -1, vcc
	v_cmp_eq_u32_e32 vcc, s25, v7
	v_cmp_ne_u32_e64 s[0:1], 0, v10
	v_cndmask_b32_e32 v6, v11, v6, vcc
	v_cmp_ne_u32_e32 vcc, 0, v6
	v_cndmask_b32_e64 v7, v14, v12, s[0:1]
	v_cndmask_b32_e64 v10, v15, v13, s[0:1]
	v_cndmask_b32_e32 v7, v8, v7, vcc
	v_cndmask_b32_e32 v6, v9, v10, vcc
	v_xor_b32_e32 v7, v7, v3
	v_xor_b32_e32 v6, v6, v3
	v_sub_co_u32_e32 v8, vcc, v7, v3
	v_subb_co_u32_e32 v9, vcc, v6, v3, vcc
                                        ; implicit-def: $vgpr6_vgpr7
.LBB11_9:                               ;   in Loop: Header=BB11_3 Depth=1
	s_andn2_saveexec_b64 s[0:1], s[2:3]
	s_cbranch_execz .LBB11_2
; %bb.10:                               ;   in Loop: Header=BB11_3 Depth=1
	v_cvt_f32_u32_e32 v3, s6
	s_sub_i32 s2, 0, s6
	v_mov_b32_e32 v9, v2
	v_rcp_iflag_f32_e32 v3, v3
	v_mul_f32_e32 v3, 0x4f7ffffe, v3
	v_cvt_u32_f32_e32 v3, v3
	v_mul_lo_u32 v7, s2, v3
	v_mul_hi_u32 v7, v3, v7
	v_add_u32_e32 v3, v3, v7
	v_mul_hi_u32 v3, v6, v3
	v_mul_lo_u32 v7, v3, s6
	v_add_u32_e32 v8, 1, v3
	v_sub_u32_e32 v6, v6, v7
	v_subrev_u32_e32 v7, s6, v6
	v_cmp_le_u32_e32 vcc, s6, v6
	v_cndmask_b32_e32 v6, v6, v7, vcc
	v_cndmask_b32_e32 v3, v3, v8, vcc
	v_add_u32_e32 v7, 1, v3
	v_cmp_le_u32_e32 vcc, s6, v6
	v_cndmask_b32_e32 v8, v3, v7, vcc
	s_branch .LBB11_2
.LBB11_11:
	s_endpgm
	.section	.rodata,"a",@progbits
	.p2align	6, 0x0
	.amdhsa_kernel _ZN2at6native16roll_cuda_kernelIN3c108BFloat16EEEvPKT_PS4_llllll
		.amdhsa_group_segment_fixed_size 0
		.amdhsa_private_segment_fixed_size 0
		.amdhsa_kernarg_size 320
		.amdhsa_user_sgpr_count 6
		.amdhsa_user_sgpr_private_segment_buffer 1
		.amdhsa_user_sgpr_dispatch_ptr 0
		.amdhsa_user_sgpr_queue_ptr 0
		.amdhsa_user_sgpr_kernarg_segment_ptr 1
		.amdhsa_user_sgpr_dispatch_id 0
		.amdhsa_user_sgpr_flat_scratch_init 0
		.amdhsa_user_sgpr_private_segment_size 0
		.amdhsa_uses_dynamic_stack 0
		.amdhsa_system_sgpr_private_segment_wavefront_offset 0
		.amdhsa_system_sgpr_workgroup_id_x 1
		.amdhsa_system_sgpr_workgroup_id_y 0
		.amdhsa_system_sgpr_workgroup_id_z 0
		.amdhsa_system_sgpr_workgroup_info 0
		.amdhsa_system_vgpr_workitem_id 0
		.amdhsa_next_free_vgpr 16
		.amdhsa_next_free_sgpr 38
		.amdhsa_reserve_vcc 1
		.amdhsa_reserve_flat_scratch 0
		.amdhsa_float_round_mode_32 0
		.amdhsa_float_round_mode_16_64 0
		.amdhsa_float_denorm_mode_32 3
		.amdhsa_float_denorm_mode_16_64 3
		.amdhsa_dx10_clamp 1
		.amdhsa_ieee_mode 1
		.amdhsa_fp16_overflow 0
		.amdhsa_exception_fp_ieee_invalid_op 0
		.amdhsa_exception_fp_denorm_src 0
		.amdhsa_exception_fp_ieee_div_zero 0
		.amdhsa_exception_fp_ieee_overflow 0
		.amdhsa_exception_fp_ieee_underflow 0
		.amdhsa_exception_fp_ieee_inexact 0
		.amdhsa_exception_int_div_zero 0
	.end_amdhsa_kernel
	.section	.text._ZN2at6native16roll_cuda_kernelIN3c108BFloat16EEEvPKT_PS4_llllll,"axG",@progbits,_ZN2at6native16roll_cuda_kernelIN3c108BFloat16EEEvPKT_PS4_llllll,comdat
.Lfunc_end11:
	.size	_ZN2at6native16roll_cuda_kernelIN3c108BFloat16EEEvPKT_PS4_llllll, .Lfunc_end11-_ZN2at6native16roll_cuda_kernelIN3c108BFloat16EEEvPKT_PS4_llllll
                                        ; -- End function
	.set _ZN2at6native16roll_cuda_kernelIN3c108BFloat16EEEvPKT_PS4_llllll.num_vgpr, 16
	.set _ZN2at6native16roll_cuda_kernelIN3c108BFloat16EEEvPKT_PS4_llllll.num_agpr, 0
	.set _ZN2at6native16roll_cuda_kernelIN3c108BFloat16EEEvPKT_PS4_llllll.numbered_sgpr, 38
	.set _ZN2at6native16roll_cuda_kernelIN3c108BFloat16EEEvPKT_PS4_llllll.num_named_barrier, 0
	.set _ZN2at6native16roll_cuda_kernelIN3c108BFloat16EEEvPKT_PS4_llllll.private_seg_size, 0
	.set _ZN2at6native16roll_cuda_kernelIN3c108BFloat16EEEvPKT_PS4_llllll.uses_vcc, 1
	.set _ZN2at6native16roll_cuda_kernelIN3c108BFloat16EEEvPKT_PS4_llllll.uses_flat_scratch, 0
	.set _ZN2at6native16roll_cuda_kernelIN3c108BFloat16EEEvPKT_PS4_llllll.has_dyn_sized_stack, 0
	.set _ZN2at6native16roll_cuda_kernelIN3c108BFloat16EEEvPKT_PS4_llllll.has_recursion, 0
	.set _ZN2at6native16roll_cuda_kernelIN3c108BFloat16EEEvPKT_PS4_llllll.has_indirect_call, 0
	.section	.AMDGPU.csdata,"",@progbits
; Kernel info:
; codeLenInByte = 1812
; TotalNumSgprs: 42
; NumVgprs: 16
; ScratchSize: 0
; MemoryBound: 0
; FloatMode: 240
; IeeeMode: 1
; LDSByteSize: 0 bytes/workgroup (compile time only)
; SGPRBlocks: 5
; VGPRBlocks: 3
; NumSGPRsForWavesPerEU: 42
; NumVGPRsForWavesPerEU: 16
; Occupancy: 10
; WaveLimiterHint : 0
; COMPUTE_PGM_RSRC2:SCRATCH_EN: 0
; COMPUTE_PGM_RSRC2:USER_SGPR: 6
; COMPUTE_PGM_RSRC2:TRAP_HANDLER: 0
; COMPUTE_PGM_RSRC2:TGID_X_EN: 1
; COMPUTE_PGM_RSRC2:TGID_Y_EN: 0
; COMPUTE_PGM_RSRC2:TGID_Z_EN: 0
; COMPUTE_PGM_RSRC2:TIDIG_COMP_CNT: 0
	.section	.text._ZN2at6native16roll_cuda_kernelIN3c107complexINS2_4HalfEEEEEvPKT_PS6_llllll,"axG",@progbits,_ZN2at6native16roll_cuda_kernelIN3c107complexINS2_4HalfEEEEEvPKT_PS6_llllll,comdat
	.protected	_ZN2at6native16roll_cuda_kernelIN3c107complexINS2_4HalfEEEEEvPKT_PS6_llllll ; -- Begin function _ZN2at6native16roll_cuda_kernelIN3c107complexINS2_4HalfEEEEEvPKT_PS6_llllll
	.globl	_ZN2at6native16roll_cuda_kernelIN3c107complexINS2_4HalfEEEEEvPKT_PS6_llllll
	.p2align	8
	.type	_ZN2at6native16roll_cuda_kernelIN3c107complexINS2_4HalfEEEEEvPKT_PS6_llllll,@function
_ZN2at6native16roll_cuda_kernelIN3c107complexINS2_4HalfEEEEEvPKT_PS6_llllll: ; @_ZN2at6native16roll_cuda_kernelIN3c107complexINS2_4HalfEEEEEvPKT_PS6_llllll
; %bb.0:
	s_load_dword s2, s[4:5], 0x4c
	s_load_dwordx2 s[12:13], s[4:5], 0x10
	s_add_u32 s0, s4, 64
	v_mov_b32_e32 v2, 0
	s_addc_u32 s1, s5, 0
	s_waitcnt lgkmcnt(0)
	s_and_b32 s2, s2, 0xffff
	v_mov_b32_e32 v1, v2
	v_mov_b32_e32 v3, s6
	v_mad_u64_u32 v[0:1], s[6:7], s2, v3, v[0:1]
	v_cmp_gt_i64_e32 vcc, s[12:13], v[0:1]
	s_and_saveexec_b64 s[6:7], vcc
	s_cbranch_execz .LBB12_11
; %bb.1:
	s_load_dwordx2 s[6:7], s[4:5], 0x30
	s_load_dwordx4 s[16:19], s[4:5], 0x20
	s_load_dwordx4 s[8:11], s[4:5], 0x0
	s_load_dword s3, s[0:1], 0x0
	v_lshlrev_b64 v[4:5], 2, v[0:1]
	s_waitcnt lgkmcnt(0)
	s_mul_i32 s0, s6, s19
	s_mul_hi_u32 s1, s6, s18
	s_add_i32 s0, s1, s0
	s_mul_i32 s1, s7, s18
	s_add_i32 s26, s0, s1
	s_sub_u32 s4, s18, s16
	s_subb_u32 s5, s19, s17
	s_mul_i32 s0, s4, s7
	s_mul_hi_u32 s1, s4, s6
	s_mul_i32 s14, s6, s17
	s_mul_hi_u32 s15, s6, s16
	s_add_i32 s0, s1, s0
	s_mul_i32 s1, s5, s6
	s_add_i32 s14, s15, s14
	s_mul_i32 s15, s7, s16
	s_add_i32 s0, s0, s1
	s_mul_i32 s1, s4, s6
	s_add_i32 s28, s14, s15
	s_mul_i32 s14, s3, s2
	s_mov_b32 s15, 0
	s_sub_u32 s30, 0, s1
	s_mul_i32 s27, s6, s18
	s_mul_i32 s29, s6, s16
	s_mov_b64 s[16:17], 0
	s_subb_u32 s31, 0, s0
	s_lshl_b64 s[18:19], s[14:15], 2
	s_ashr_i32 s20, s26, 31
	s_branch .LBB12_3
.LBB12_2:                               ;   in Loop: Header=BB12_3 Depth=1
	s_or_b64 exec, exec, s[0:1]
	v_cmp_gt_i64_e32 vcc, s[4:5], v[8:9]
	v_mov_b32_e32 v3, s31
	v_mov_b32_e32 v6, s28
	v_cndmask_b32_e32 v7, v3, v6, vcc
	v_mov_b32_e32 v3, s30
	v_mov_b32_e32 v6, s29
	v_cndmask_b32_e32 v6, v3, v6, vcc
	v_lshlrev_b64 v[6:7], 2, v[6:7]
	v_mov_b32_e32 v8, s9
	v_add_co_u32_e32 v3, vcc, v4, v6
	v_addc_co_u32_e32 v7, vcc, v5, v7, vcc
	v_add_co_u32_e32 v6, vcc, s8, v3
	v_addc_co_u32_e32 v7, vcc, v8, v7, vcc
	global_load_dword v3, v[6:7], off
	v_add_co_u32_e32 v0, vcc, s14, v0
	v_addc_co_u32_e32 v1, vcc, 0, v1, vcc
	v_cmp_le_i64_e32 vcc, s[12:13], v[0:1]
	v_mov_b32_e32 v7, s11
	v_mov_b32_e32 v8, s19
	v_add_co_u32_e64 v6, s[0:1], s10, v4
	s_or_b64 s[16:17], vcc, s[16:17]
	v_add_co_u32_e32 v4, vcc, s18, v4
	v_addc_co_u32_e64 v7, s[0:1], v7, v5, s[0:1]
	v_addc_co_u32_e32 v5, vcc, v5, v8, vcc
	s_waitcnt vmcnt(0)
	global_store_dword v[6:7], v3, off
	s_andn2_b64 exec, exec, s[16:17]
	s_cbranch_execz .LBB12_11
.LBB12_3:                               ; =>This Inner Loop Header: Depth=1
	v_or_b32_e32 v3, s26, v1
	v_cmp_ne_u64_e32 vcc, 0, v[2:3]
                                        ; implicit-def: $vgpr6_vgpr7
	s_and_saveexec_b64 s[0:1], vcc
	s_xor_b64 s[22:23], exec, s[0:1]
	s_cbranch_execz .LBB12_5
; %bb.4:                                ;   in Loop: Header=BB12_3 Depth=1
	s_add_u32 s0, s27, s20
	s_mov_b32 s21, s20
	s_addc_u32 s1, s26, s20
	s_xor_b64 s[24:25], s[0:1], s[20:21]
	v_cvt_f32_u32_e32 v3, s24
	v_cvt_f32_u32_e32 v6, s25
	s_sub_u32 s2, 0, s24
	s_subb_u32 s3, 0, s25
	v_mac_f32_e32 v3, 0x4f800000, v6
	v_rcp_f32_e32 v3, v3
	v_mul_f32_e32 v3, 0x5f7ffffc, v3
	v_mul_f32_e32 v6, 0x2f800000, v3
	v_trunc_f32_e32 v6, v6
	v_mac_f32_e32 v3, 0xcf800000, v6
	v_cvt_u32_f32_e32 v6, v6
	v_cvt_u32_f32_e32 v3, v3
	v_readfirstlane_b32 s15, v6
	v_readfirstlane_b32 s0, v3
	s_mul_i32 s1, s2, s15
	s_mul_hi_u32 s33, s2, s0
	s_mul_i32 s21, s3, s0
	s_add_i32 s1, s33, s1
	s_add_i32 s1, s1, s21
	s_mul_i32 s34, s2, s0
	s_mul_i32 s33, s0, s1
	s_mul_hi_u32 s35, s0, s34
	s_mul_hi_u32 s21, s0, s1
	s_add_u32 s33, s35, s33
	s_addc_u32 s21, 0, s21
	s_mul_hi_u32 s36, s15, s34
	s_mul_i32 s34, s15, s34
	s_add_u32 s33, s33, s34
	s_mul_hi_u32 s35, s15, s1
	s_addc_u32 s21, s21, s36
	s_addc_u32 s33, s35, 0
	s_mul_i32 s1, s15, s1
	s_add_u32 s1, s21, s1
	s_addc_u32 s21, 0, s33
	s_add_u32 s33, s0, s1
	s_cselect_b64 s[0:1], -1, 0
	s_cmp_lg_u64 s[0:1], 0
	s_addc_u32 s15, s15, s21
	s_mul_i32 s0, s2, s15
	s_mul_hi_u32 s1, s2, s33
	s_add_i32 s0, s1, s0
	s_mul_i32 s3, s3, s33
	s_add_i32 s0, s0, s3
	s_mul_i32 s2, s2, s33
	s_mul_hi_u32 s3, s15, s2
	s_mul_i32 s21, s15, s2
	s_mul_i32 s35, s33, s0
	s_mul_hi_u32 s2, s33, s2
	s_mul_hi_u32 s34, s33, s0
	s_add_u32 s2, s2, s35
	s_addc_u32 s34, 0, s34
	s_add_u32 s2, s2, s21
	s_mul_hi_u32 s1, s15, s0
	s_addc_u32 s2, s34, s3
	s_addc_u32 s1, s1, 0
	s_mul_i32 s0, s15, s0
	s_add_u32 s0, s2, s0
	s_addc_u32 s2, 0, s1
	s_add_u32 s3, s33, s0
	s_cselect_b64 s[0:1], -1, 0
	v_ashrrev_i32_e32 v3, 31, v1
	s_cmp_lg_u64 s[0:1], 0
	v_add_co_u32_e32 v6, vcc, v0, v3
	s_addc_u32 s2, s15, s2
	v_xor_b32_e32 v10, v6, v3
	v_mad_u64_u32 v[6:7], s[0:1], v10, s2, 0
	v_mul_hi_u32 v9, v10, s3
	v_addc_co_u32_e32 v8, vcc, v1, v3, vcc
	v_xor_b32_e32 v11, v8, v3
	v_add_co_u32_e32 v12, vcc, v9, v6
	v_addc_co_u32_e32 v13, vcc, 0, v7, vcc
	v_mad_u64_u32 v[6:7], s[0:1], v11, s3, 0
	v_mad_u64_u32 v[8:9], s[0:1], v11, s2, 0
	v_add_co_u32_e32 v6, vcc, v12, v6
	v_addc_co_u32_e32 v6, vcc, v13, v7, vcc
	v_addc_co_u32_e32 v7, vcc, 0, v9, vcc
	v_add_co_u32_e32 v6, vcc, v6, v8
	v_addc_co_u32_e32 v7, vcc, 0, v7, vcc
	v_mul_lo_u32 v8, s25, v6
	v_mul_lo_u32 v9, s24, v7
	v_mad_u64_u32 v[6:7], s[0:1], s24, v6, 0
	v_add3_u32 v7, v7, v9, v8
	v_sub_u32_e32 v8, v11, v7
	v_mov_b32_e32 v9, s25
	v_sub_co_u32_e32 v6, vcc, v10, v6
	v_subb_co_u32_e64 v8, s[0:1], v8, v9, vcc
	v_subrev_co_u32_e64 v10, s[0:1], s24, v6
	v_subbrev_co_u32_e64 v12, s[2:3], 0, v8, s[0:1]
	v_cmp_le_u32_e64 s[2:3], s25, v12
	v_cndmask_b32_e64 v13, 0, -1, s[2:3]
	v_cmp_le_u32_e64 s[2:3], s24, v10
	v_subb_co_u32_e64 v8, s[0:1], v8, v9, s[0:1]
	v_cndmask_b32_e64 v14, 0, -1, s[2:3]
	v_cmp_eq_u32_e64 s[2:3], s25, v12
	v_subrev_co_u32_e64 v9, s[0:1], s24, v10
	v_subb_co_u32_e32 v7, vcc, v11, v7, vcc
	v_cndmask_b32_e64 v13, v13, v14, s[2:3]
	v_subbrev_co_u32_e64 v8, s[0:1], 0, v8, s[0:1]
	v_cmp_le_u32_e32 vcc, s25, v7
	v_cmp_ne_u32_e64 s[0:1], 0, v13
	v_cndmask_b32_e64 v11, 0, -1, vcc
	v_cmp_le_u32_e32 vcc, s24, v6
	v_cndmask_b32_e64 v8, v12, v8, s[0:1]
	v_cndmask_b32_e64 v12, 0, -1, vcc
	v_cmp_eq_u32_e32 vcc, s25, v7
	v_cndmask_b32_e32 v11, v11, v12, vcc
	v_cmp_ne_u32_e32 vcc, 0, v11
	v_cndmask_b32_e32 v7, v7, v8, vcc
	v_cndmask_b32_e64 v8, v10, v9, s[0:1]
	v_cndmask_b32_e32 v6, v6, v8, vcc
	v_xor_b32_e32 v6, v6, v3
	v_xor_b32_e32 v7, v7, v3
	v_sub_co_u32_e32 v6, vcc, v6, v3
	v_subb_co_u32_e32 v7, vcc, v7, v3, vcc
.LBB12_5:                               ;   in Loop: Header=BB12_3 Depth=1
	s_andn2_saveexec_b64 s[0:1], s[22:23]
	s_cbranch_execz .LBB12_7
; %bb.6:                                ;   in Loop: Header=BB12_3 Depth=1
	v_cvt_f32_u32_e32 v3, s27
	s_sub_i32 s2, 0, s27
	v_mov_b32_e32 v7, v2
	v_rcp_iflag_f32_e32 v3, v3
	v_mul_f32_e32 v3, 0x4f7ffffe, v3
	v_cvt_u32_f32_e32 v3, v3
	v_mul_lo_u32 v6, s2, v3
	v_mul_hi_u32 v6, v3, v6
	v_add_u32_e32 v3, v3, v6
	v_mul_hi_u32 v3, v0, v3
	v_mul_lo_u32 v3, v3, s27
	v_sub_u32_e32 v3, v0, v3
	v_subrev_u32_e32 v6, s27, v3
	v_cmp_le_u32_e32 vcc, s27, v3
	v_cndmask_b32_e32 v3, v3, v6, vcc
	v_subrev_u32_e32 v6, s27, v3
	v_cmp_le_u32_e32 vcc, s27, v3
	v_cndmask_b32_e32 v6, v3, v6, vcc
.LBB12_7:                               ;   in Loop: Header=BB12_3 Depth=1
	s_or_b64 exec, exec, s[0:1]
	v_or_b32_e32 v3, s7, v7
	v_cmp_ne_u64_e32 vcc, 0, v[2:3]
                                        ; implicit-def: $vgpr8_vgpr9
	s_and_saveexec_b64 s[0:1], vcc
	s_xor_b64 s[2:3], exec, s[0:1]
	s_cbranch_execz .LBB12_9
; %bb.8:                                ;   in Loop: Header=BB12_3 Depth=1
	s_ashr_i32 s22, s7, 31
	s_add_u32 s0, s6, s22
	s_mov_b32 s23, s22
	s_addc_u32 s1, s7, s22
	s_xor_b64 s[24:25], s[0:1], s[22:23]
	v_cvt_f32_u32_e32 v3, s24
	v_cvt_f32_u32_e32 v8, s25
	s_sub_u32 s15, 0, s24
	s_subb_u32 s21, 0, s25
	v_mac_f32_e32 v3, 0x4f800000, v8
	v_rcp_f32_e32 v3, v3
	v_mul_f32_e32 v3, 0x5f7ffffc, v3
	v_mul_f32_e32 v8, 0x2f800000, v3
	v_trunc_f32_e32 v8, v8
	v_mac_f32_e32 v3, 0xcf800000, v8
	v_cvt_u32_f32_e32 v8, v8
	v_cvt_u32_f32_e32 v3, v3
	v_readfirstlane_b32 s23, v8
	v_readfirstlane_b32 s0, v3
	s_mul_i32 s1, s15, s23
	s_mul_hi_u32 s34, s15, s0
	s_mul_i32 s33, s21, s0
	s_add_i32 s1, s34, s1
	s_add_i32 s1, s1, s33
	s_mul_i32 s35, s15, s0
	s_mul_i32 s34, s0, s1
	s_mul_hi_u32 s36, s0, s35
	s_mul_hi_u32 s33, s0, s1
	s_add_u32 s34, s36, s34
	s_addc_u32 s33, 0, s33
	s_mul_hi_u32 s37, s23, s35
	s_mul_i32 s35, s23, s35
	s_add_u32 s34, s34, s35
	s_mul_hi_u32 s36, s23, s1
	s_addc_u32 s33, s33, s37
	s_addc_u32 s34, s36, 0
	s_mul_i32 s1, s23, s1
	s_add_u32 s1, s33, s1
	s_addc_u32 s33, 0, s34
	s_add_u32 s34, s0, s1
	s_cselect_b64 s[0:1], -1, 0
	s_cmp_lg_u64 s[0:1], 0
	s_addc_u32 s23, s23, s33
	s_mul_i32 s0, s15, s23
	s_mul_hi_u32 s1, s15, s34
	s_add_i32 s0, s1, s0
	s_mul_i32 s21, s21, s34
	s_add_i32 s0, s0, s21
	s_mul_i32 s15, s15, s34
	s_mul_hi_u32 s21, s23, s15
	s_mul_i32 s33, s23, s15
	s_mul_i32 s36, s34, s0
	s_mul_hi_u32 s15, s34, s15
	s_mul_hi_u32 s35, s34, s0
	s_add_u32 s15, s15, s36
	s_addc_u32 s35, 0, s35
	s_add_u32 s15, s15, s33
	s_mul_hi_u32 s1, s23, s0
	s_addc_u32 s15, s35, s21
	s_addc_u32 s1, s1, 0
	s_mul_i32 s0, s23, s0
	s_add_u32 s0, s15, s0
	s_addc_u32 s15, 0, s1
	s_add_u32 s21, s34, s0
	s_cselect_b64 s[0:1], -1, 0
	v_ashrrev_i32_e32 v3, 31, v7
	s_cmp_lg_u64 s[0:1], 0
	v_add_co_u32_e32 v6, vcc, v6, v3
	s_addc_u32 s15, s23, s15
	v_xor_b32_e32 v10, v6, v3
	v_addc_co_u32_e32 v8, vcc, v7, v3, vcc
	v_mad_u64_u32 v[6:7], s[0:1], v10, s15, 0
	v_mul_hi_u32 v9, v10, s21
	v_xor_b32_e32 v11, v8, v3
	v_xor_b32_e32 v3, s22, v3
	v_add_co_u32_e32 v12, vcc, v9, v6
	v_addc_co_u32_e32 v13, vcc, 0, v7, vcc
	v_mad_u64_u32 v[6:7], s[0:1], v11, s21, 0
	v_mad_u64_u32 v[8:9], s[0:1], v11, s15, 0
	v_add_co_u32_e32 v6, vcc, v12, v6
	v_addc_co_u32_e32 v6, vcc, v13, v7, vcc
	v_addc_co_u32_e32 v7, vcc, 0, v9, vcc
	v_add_co_u32_e32 v8, vcc, v6, v8
	v_addc_co_u32_e32 v9, vcc, 0, v7, vcc
	v_mul_lo_u32 v12, s25, v8
	v_mul_lo_u32 v13, s24, v9
	v_mad_u64_u32 v[6:7], s[0:1], s24, v8, 0
	v_add3_u32 v7, v7, v13, v12
	v_sub_u32_e32 v12, v11, v7
	v_mov_b32_e32 v13, s25
	v_sub_co_u32_e32 v6, vcc, v10, v6
	v_subb_co_u32_e64 v10, s[0:1], v12, v13, vcc
	v_subrev_co_u32_e64 v12, s[0:1], s24, v6
	v_subbrev_co_u32_e64 v10, s[0:1], 0, v10, s[0:1]
	v_cmp_le_u32_e64 s[0:1], s25, v10
	v_cndmask_b32_e64 v13, 0, -1, s[0:1]
	v_cmp_le_u32_e64 s[0:1], s24, v12
	v_cndmask_b32_e64 v12, 0, -1, s[0:1]
	v_cmp_eq_u32_e64 s[0:1], s25, v10
	v_cndmask_b32_e64 v10, v13, v12, s[0:1]
	v_add_co_u32_e64 v12, s[0:1], 2, v8
	v_subb_co_u32_e32 v7, vcc, v11, v7, vcc
	v_addc_co_u32_e64 v13, s[0:1], 0, v9, s[0:1]
	v_cmp_le_u32_e32 vcc, s25, v7
	v_add_co_u32_e64 v14, s[0:1], 1, v8
	v_cndmask_b32_e64 v11, 0, -1, vcc
	v_cmp_le_u32_e32 vcc, s24, v6
	v_addc_co_u32_e64 v15, s[0:1], 0, v9, s[0:1]
	v_cndmask_b32_e64 v6, 0, -1, vcc
	v_cmp_eq_u32_e32 vcc, s25, v7
	v_cmp_ne_u32_e64 s[0:1], 0, v10
	v_cndmask_b32_e32 v6, v11, v6, vcc
	v_cmp_ne_u32_e32 vcc, 0, v6
	v_cndmask_b32_e64 v7, v14, v12, s[0:1]
	v_cndmask_b32_e64 v10, v15, v13, s[0:1]
	v_cndmask_b32_e32 v7, v8, v7, vcc
	v_cndmask_b32_e32 v6, v9, v10, vcc
	v_xor_b32_e32 v7, v7, v3
	v_xor_b32_e32 v6, v6, v3
	v_sub_co_u32_e32 v8, vcc, v7, v3
	v_subb_co_u32_e32 v9, vcc, v6, v3, vcc
                                        ; implicit-def: $vgpr6_vgpr7
.LBB12_9:                               ;   in Loop: Header=BB12_3 Depth=1
	s_andn2_saveexec_b64 s[0:1], s[2:3]
	s_cbranch_execz .LBB12_2
; %bb.10:                               ;   in Loop: Header=BB12_3 Depth=1
	v_cvt_f32_u32_e32 v3, s6
	s_sub_i32 s2, 0, s6
	v_mov_b32_e32 v9, v2
	v_rcp_iflag_f32_e32 v3, v3
	v_mul_f32_e32 v3, 0x4f7ffffe, v3
	v_cvt_u32_f32_e32 v3, v3
	v_mul_lo_u32 v7, s2, v3
	v_mul_hi_u32 v7, v3, v7
	v_add_u32_e32 v3, v3, v7
	v_mul_hi_u32 v3, v6, v3
	v_mul_lo_u32 v7, v3, s6
	v_add_u32_e32 v8, 1, v3
	v_sub_u32_e32 v6, v6, v7
	v_subrev_u32_e32 v7, s6, v6
	v_cmp_le_u32_e32 vcc, s6, v6
	v_cndmask_b32_e32 v6, v6, v7, vcc
	v_cndmask_b32_e32 v3, v3, v8, vcc
	v_add_u32_e32 v7, 1, v3
	v_cmp_le_u32_e32 vcc, s6, v6
	v_cndmask_b32_e32 v8, v3, v7, vcc
	s_branch .LBB12_2
.LBB12_11:
	s_endpgm
	.section	.rodata,"a",@progbits
	.p2align	6, 0x0
	.amdhsa_kernel _ZN2at6native16roll_cuda_kernelIN3c107complexINS2_4HalfEEEEEvPKT_PS6_llllll
		.amdhsa_group_segment_fixed_size 0
		.amdhsa_private_segment_fixed_size 0
		.amdhsa_kernarg_size 320
		.amdhsa_user_sgpr_count 6
		.amdhsa_user_sgpr_private_segment_buffer 1
		.amdhsa_user_sgpr_dispatch_ptr 0
		.amdhsa_user_sgpr_queue_ptr 0
		.amdhsa_user_sgpr_kernarg_segment_ptr 1
		.amdhsa_user_sgpr_dispatch_id 0
		.amdhsa_user_sgpr_flat_scratch_init 0
		.amdhsa_user_sgpr_private_segment_size 0
		.amdhsa_uses_dynamic_stack 0
		.amdhsa_system_sgpr_private_segment_wavefront_offset 0
		.amdhsa_system_sgpr_workgroup_id_x 1
		.amdhsa_system_sgpr_workgroup_id_y 0
		.amdhsa_system_sgpr_workgroup_id_z 0
		.amdhsa_system_sgpr_workgroup_info 0
		.amdhsa_system_vgpr_workitem_id 0
		.amdhsa_next_free_vgpr 16
		.amdhsa_next_free_sgpr 38
		.amdhsa_reserve_vcc 1
		.amdhsa_reserve_flat_scratch 0
		.amdhsa_float_round_mode_32 0
		.amdhsa_float_round_mode_16_64 0
		.amdhsa_float_denorm_mode_32 3
		.amdhsa_float_denorm_mode_16_64 3
		.amdhsa_dx10_clamp 1
		.amdhsa_ieee_mode 1
		.amdhsa_fp16_overflow 0
		.amdhsa_exception_fp_ieee_invalid_op 0
		.amdhsa_exception_fp_denorm_src 0
		.amdhsa_exception_fp_ieee_div_zero 0
		.amdhsa_exception_fp_ieee_overflow 0
		.amdhsa_exception_fp_ieee_underflow 0
		.amdhsa_exception_fp_ieee_inexact 0
		.amdhsa_exception_int_div_zero 0
	.end_amdhsa_kernel
	.section	.text._ZN2at6native16roll_cuda_kernelIN3c107complexINS2_4HalfEEEEEvPKT_PS6_llllll,"axG",@progbits,_ZN2at6native16roll_cuda_kernelIN3c107complexINS2_4HalfEEEEEvPKT_PS6_llllll,comdat
.Lfunc_end12:
	.size	_ZN2at6native16roll_cuda_kernelIN3c107complexINS2_4HalfEEEEEvPKT_PS6_llllll, .Lfunc_end12-_ZN2at6native16roll_cuda_kernelIN3c107complexINS2_4HalfEEEEEvPKT_PS6_llllll
                                        ; -- End function
	.set _ZN2at6native16roll_cuda_kernelIN3c107complexINS2_4HalfEEEEEvPKT_PS6_llllll.num_vgpr, 16
	.set _ZN2at6native16roll_cuda_kernelIN3c107complexINS2_4HalfEEEEEvPKT_PS6_llllll.num_agpr, 0
	.set _ZN2at6native16roll_cuda_kernelIN3c107complexINS2_4HalfEEEEEvPKT_PS6_llllll.numbered_sgpr, 38
	.set _ZN2at6native16roll_cuda_kernelIN3c107complexINS2_4HalfEEEEEvPKT_PS6_llllll.num_named_barrier, 0
	.set _ZN2at6native16roll_cuda_kernelIN3c107complexINS2_4HalfEEEEEvPKT_PS6_llllll.private_seg_size, 0
	.set _ZN2at6native16roll_cuda_kernelIN3c107complexINS2_4HalfEEEEEvPKT_PS6_llllll.uses_vcc, 1
	.set _ZN2at6native16roll_cuda_kernelIN3c107complexINS2_4HalfEEEEEvPKT_PS6_llllll.uses_flat_scratch, 0
	.set _ZN2at6native16roll_cuda_kernelIN3c107complexINS2_4HalfEEEEEvPKT_PS6_llllll.has_dyn_sized_stack, 0
	.set _ZN2at6native16roll_cuda_kernelIN3c107complexINS2_4HalfEEEEEvPKT_PS6_llllll.has_recursion, 0
	.set _ZN2at6native16roll_cuda_kernelIN3c107complexINS2_4HalfEEEEEvPKT_PS6_llllll.has_indirect_call, 0
	.section	.AMDGPU.csdata,"",@progbits
; Kernel info:
; codeLenInByte = 1812
; TotalNumSgprs: 42
; NumVgprs: 16
; ScratchSize: 0
; MemoryBound: 0
; FloatMode: 240
; IeeeMode: 1
; LDSByteSize: 0 bytes/workgroup (compile time only)
; SGPRBlocks: 5
; VGPRBlocks: 3
; NumSGPRsForWavesPerEU: 42
; NumVGPRsForWavesPerEU: 16
; Occupancy: 10
; WaveLimiterHint : 0
; COMPUTE_PGM_RSRC2:SCRATCH_EN: 0
; COMPUTE_PGM_RSRC2:USER_SGPR: 6
; COMPUTE_PGM_RSRC2:TRAP_HANDLER: 0
; COMPUTE_PGM_RSRC2:TGID_X_EN: 1
; COMPUTE_PGM_RSRC2:TGID_Y_EN: 0
; COMPUTE_PGM_RSRC2:TGID_Z_EN: 0
; COMPUTE_PGM_RSRC2:TIDIG_COMP_CNT: 0
	.section	.AMDGPU.gpr_maximums,"",@progbits
	.set amdgpu.max_num_vgpr, 0
	.set amdgpu.max_num_agpr, 0
	.set amdgpu.max_num_sgpr, 0
	.section	.AMDGPU.csdata,"",@progbits
	.type	__hip_cuid_772f03f074ffc524,@object ; @__hip_cuid_772f03f074ffc524
	.section	.bss,"aw",@nobits
	.globl	__hip_cuid_772f03f074ffc524
__hip_cuid_772f03f074ffc524:
	.byte	0                               ; 0x0
	.size	__hip_cuid_772f03f074ffc524, 1

	.ident	"AMD clang version 22.0.0git (https://github.com/RadeonOpenCompute/llvm-project roc-7.2.4 26084 f58b06dce1f9c15707c5f808fd002e18c2accf7e)"
	.section	".note.GNU-stack","",@progbits
	.addrsig
	.addrsig_sym __hip_cuid_772f03f074ffc524
	.amdgpu_metadata
---
amdhsa.kernels:
  - .args:
      - .address_space:  global
        .offset:         0
        .size:           8
        .value_kind:     global_buffer
      - .address_space:  global
        .offset:         8
        .size:           8
        .value_kind:     global_buffer
      - .offset:         16
        .size:           8
        .value_kind:     by_value
      - .offset:         24
        .size:           8
        .value_kind:     by_value
      - .offset:         32
        .size:           8
        .value_kind:     by_value
      - .offset:         40
        .size:           8
        .value_kind:     by_value
      - .offset:         48
        .size:           8
        .value_kind:     by_value
      - .offset:         56
        .size:           8
        .value_kind:     by_value
      - .offset:         64
        .size:           4
        .value_kind:     hidden_block_count_x
      - .offset:         68
        .size:           4
        .value_kind:     hidden_block_count_y
      - .offset:         72
        .size:           4
        .value_kind:     hidden_block_count_z
      - .offset:         76
        .size:           2
        .value_kind:     hidden_group_size_x
      - .offset:         78
        .size:           2
        .value_kind:     hidden_group_size_y
      - .offset:         80
        .size:           2
        .value_kind:     hidden_group_size_z
      - .offset:         82
        .size:           2
        .value_kind:     hidden_remainder_x
      - .offset:         84
        .size:           2
        .value_kind:     hidden_remainder_y
      - .offset:         86
        .size:           2
        .value_kind:     hidden_remainder_z
      - .offset:         104
        .size:           8
        .value_kind:     hidden_global_offset_x
      - .offset:         112
        .size:           8
        .value_kind:     hidden_global_offset_y
      - .offset:         120
        .size:           8
        .value_kind:     hidden_global_offset_z
      - .offset:         128
        .size:           2
        .value_kind:     hidden_grid_dims
    .group_segment_fixed_size: 0
    .kernarg_segment_align: 8
    .kernarg_segment_size: 320
    .language:       OpenCL C
    .language_version:
      - 2
      - 0
    .max_flat_workgroup_size: 512
    .name:           _ZN2at6native16roll_cuda_kernelIhEEvPKT_PS2_llllll
    .private_segment_fixed_size: 0
    .sgpr_count:     40
    .sgpr_spill_count: 0
    .symbol:         _ZN2at6native16roll_cuda_kernelIhEEvPKT_PS2_llllll.kd
    .uniform_work_group_size: 1
    .uses_dynamic_stack: false
    .vgpr_count:     14
    .vgpr_spill_count: 0
    .wavefront_size: 64
  - .args:
      - .address_space:  global
        .offset:         0
        .size:           8
        .value_kind:     global_buffer
      - .address_space:  global
        .offset:         8
        .size:           8
        .value_kind:     global_buffer
      - .offset:         16
        .size:           8
        .value_kind:     by_value
      - .offset:         24
        .size:           8
        .value_kind:     by_value
      - .offset:         32
        .size:           8
        .value_kind:     by_value
      - .offset:         40
        .size:           8
        .value_kind:     by_value
      - .offset:         48
        .size:           8
        .value_kind:     by_value
      - .offset:         56
        .size:           8
        .value_kind:     by_value
      - .offset:         64
        .size:           4
        .value_kind:     hidden_block_count_x
      - .offset:         68
        .size:           4
        .value_kind:     hidden_block_count_y
      - .offset:         72
        .size:           4
        .value_kind:     hidden_block_count_z
      - .offset:         76
        .size:           2
        .value_kind:     hidden_group_size_x
      - .offset:         78
        .size:           2
        .value_kind:     hidden_group_size_y
      - .offset:         80
        .size:           2
        .value_kind:     hidden_group_size_z
      - .offset:         82
        .size:           2
        .value_kind:     hidden_remainder_x
      - .offset:         84
        .size:           2
        .value_kind:     hidden_remainder_y
      - .offset:         86
        .size:           2
        .value_kind:     hidden_remainder_z
      - .offset:         104
        .size:           8
        .value_kind:     hidden_global_offset_x
      - .offset:         112
        .size:           8
        .value_kind:     hidden_global_offset_y
      - .offset:         120
        .size:           8
        .value_kind:     hidden_global_offset_z
      - .offset:         128
        .size:           2
        .value_kind:     hidden_grid_dims
    .group_segment_fixed_size: 0
    .kernarg_segment_align: 8
    .kernarg_segment_size: 320
    .language:       OpenCL C
    .language_version:
      - 2
      - 0
    .max_flat_workgroup_size: 512
    .name:           _ZN2at6native16roll_cuda_kernelIaEEvPKT_PS2_llllll
    .private_segment_fixed_size: 0
    .sgpr_count:     40
    .sgpr_spill_count: 0
    .symbol:         _ZN2at6native16roll_cuda_kernelIaEEvPKT_PS2_llllll.kd
    .uniform_work_group_size: 1
    .uses_dynamic_stack: false
    .vgpr_count:     14
    .vgpr_spill_count: 0
    .wavefront_size: 64
  - .args:
      - .address_space:  global
        .offset:         0
        .size:           8
        .value_kind:     global_buffer
      - .address_space:  global
        .offset:         8
        .size:           8
        .value_kind:     global_buffer
      - .offset:         16
        .size:           8
        .value_kind:     by_value
      - .offset:         24
        .size:           8
        .value_kind:     by_value
      - .offset:         32
        .size:           8
        .value_kind:     by_value
      - .offset:         40
        .size:           8
        .value_kind:     by_value
      - .offset:         48
        .size:           8
        .value_kind:     by_value
      - .offset:         56
        .size:           8
        .value_kind:     by_value
      - .offset:         64
        .size:           4
        .value_kind:     hidden_block_count_x
      - .offset:         68
        .size:           4
        .value_kind:     hidden_block_count_y
      - .offset:         72
        .size:           4
        .value_kind:     hidden_block_count_z
      - .offset:         76
        .size:           2
        .value_kind:     hidden_group_size_x
      - .offset:         78
        .size:           2
        .value_kind:     hidden_group_size_y
      - .offset:         80
        .size:           2
        .value_kind:     hidden_group_size_z
      - .offset:         82
        .size:           2
        .value_kind:     hidden_remainder_x
      - .offset:         84
        .size:           2
        .value_kind:     hidden_remainder_y
      - .offset:         86
        .size:           2
        .value_kind:     hidden_remainder_z
      - .offset:         104
        .size:           8
        .value_kind:     hidden_global_offset_x
      - .offset:         112
        .size:           8
        .value_kind:     hidden_global_offset_y
      - .offset:         120
        .size:           8
        .value_kind:     hidden_global_offset_z
      - .offset:         128
        .size:           2
        .value_kind:     hidden_grid_dims
    .group_segment_fixed_size: 0
    .kernarg_segment_align: 8
    .kernarg_segment_size: 320
    .language:       OpenCL C
    .language_version:
      - 2
      - 0
    .max_flat_workgroup_size: 512
    .name:           _ZN2at6native16roll_cuda_kernelIiEEvPKT_PS2_llllll
    .private_segment_fixed_size: 0
    .sgpr_count:     42
    .sgpr_spill_count: 0
    .symbol:         _ZN2at6native16roll_cuda_kernelIiEEvPKT_PS2_llllll.kd
    .uniform_work_group_size: 1
    .uses_dynamic_stack: false
    .vgpr_count:     16
    .vgpr_spill_count: 0
    .wavefront_size: 64
  - .args:
      - .address_space:  global
        .offset:         0
        .size:           8
        .value_kind:     global_buffer
      - .address_space:  global
        .offset:         8
        .size:           8
        .value_kind:     global_buffer
      - .offset:         16
        .size:           8
        .value_kind:     by_value
      - .offset:         24
        .size:           8
        .value_kind:     by_value
      - .offset:         32
        .size:           8
        .value_kind:     by_value
      - .offset:         40
        .size:           8
        .value_kind:     by_value
      - .offset:         48
        .size:           8
        .value_kind:     by_value
      - .offset:         56
        .size:           8
        .value_kind:     by_value
      - .offset:         64
        .size:           4
        .value_kind:     hidden_block_count_x
      - .offset:         68
        .size:           4
        .value_kind:     hidden_block_count_y
      - .offset:         72
        .size:           4
        .value_kind:     hidden_block_count_z
      - .offset:         76
        .size:           2
        .value_kind:     hidden_group_size_x
      - .offset:         78
        .size:           2
        .value_kind:     hidden_group_size_y
      - .offset:         80
        .size:           2
        .value_kind:     hidden_group_size_z
      - .offset:         82
        .size:           2
        .value_kind:     hidden_remainder_x
      - .offset:         84
        .size:           2
        .value_kind:     hidden_remainder_y
      - .offset:         86
        .size:           2
        .value_kind:     hidden_remainder_z
      - .offset:         104
        .size:           8
        .value_kind:     hidden_global_offset_x
      - .offset:         112
        .size:           8
        .value_kind:     hidden_global_offset_y
      - .offset:         120
        .size:           8
        .value_kind:     hidden_global_offset_z
      - .offset:         128
        .size:           2
        .value_kind:     hidden_grid_dims
    .group_segment_fixed_size: 0
    .kernarg_segment_align: 8
    .kernarg_segment_size: 320
    .language:       OpenCL C
    .language_version:
      - 2
      - 0
    .max_flat_workgroup_size: 512
    .name:           _ZN2at6native16roll_cuda_kernelIlEEvPKT_PS2_llllll
    .private_segment_fixed_size: 0
    .sgpr_count:     42
    .sgpr_spill_count: 0
    .symbol:         _ZN2at6native16roll_cuda_kernelIlEEvPKT_PS2_llllll.kd
    .uniform_work_group_size: 1
    .uses_dynamic_stack: false
    .vgpr_count:     16
    .vgpr_spill_count: 0
    .wavefront_size: 64
  - .args:
      - .address_space:  global
        .offset:         0
        .size:           8
        .value_kind:     global_buffer
      - .address_space:  global
        .offset:         8
        .size:           8
        .value_kind:     global_buffer
      - .offset:         16
        .size:           8
        .value_kind:     by_value
      - .offset:         24
        .size:           8
        .value_kind:     by_value
      - .offset:         32
        .size:           8
        .value_kind:     by_value
      - .offset:         40
        .size:           8
        .value_kind:     by_value
      - .offset:         48
        .size:           8
        .value_kind:     by_value
      - .offset:         56
        .size:           8
        .value_kind:     by_value
      - .offset:         64
        .size:           4
        .value_kind:     hidden_block_count_x
      - .offset:         68
        .size:           4
        .value_kind:     hidden_block_count_y
      - .offset:         72
        .size:           4
        .value_kind:     hidden_block_count_z
      - .offset:         76
        .size:           2
        .value_kind:     hidden_group_size_x
      - .offset:         78
        .size:           2
        .value_kind:     hidden_group_size_y
      - .offset:         80
        .size:           2
        .value_kind:     hidden_group_size_z
      - .offset:         82
        .size:           2
        .value_kind:     hidden_remainder_x
      - .offset:         84
        .size:           2
        .value_kind:     hidden_remainder_y
      - .offset:         86
        .size:           2
        .value_kind:     hidden_remainder_z
      - .offset:         104
        .size:           8
        .value_kind:     hidden_global_offset_x
      - .offset:         112
        .size:           8
        .value_kind:     hidden_global_offset_y
      - .offset:         120
        .size:           8
        .value_kind:     hidden_global_offset_z
      - .offset:         128
        .size:           2
        .value_kind:     hidden_grid_dims
    .group_segment_fixed_size: 0
    .kernarg_segment_align: 8
    .kernarg_segment_size: 320
    .language:       OpenCL C
    .language_version:
      - 2
      - 0
    .max_flat_workgroup_size: 512
    .name:           _ZN2at6native16roll_cuda_kernelIsEEvPKT_PS2_llllll
    .private_segment_fixed_size: 0
    .sgpr_count:     42
    .sgpr_spill_count: 0
    .symbol:         _ZN2at6native16roll_cuda_kernelIsEEvPKT_PS2_llllll.kd
    .uniform_work_group_size: 1
    .uses_dynamic_stack: false
    .vgpr_count:     16
    .vgpr_spill_count: 0
    .wavefront_size: 64
  - .args:
      - .address_space:  global
        .offset:         0
        .size:           8
        .value_kind:     global_buffer
      - .address_space:  global
        .offset:         8
        .size:           8
        .value_kind:     global_buffer
      - .offset:         16
        .size:           8
        .value_kind:     by_value
      - .offset:         24
        .size:           8
        .value_kind:     by_value
      - .offset:         32
        .size:           8
        .value_kind:     by_value
      - .offset:         40
        .size:           8
        .value_kind:     by_value
      - .offset:         48
        .size:           8
        .value_kind:     by_value
      - .offset:         56
        .size:           8
        .value_kind:     by_value
      - .offset:         64
        .size:           4
        .value_kind:     hidden_block_count_x
      - .offset:         68
        .size:           4
        .value_kind:     hidden_block_count_y
      - .offset:         72
        .size:           4
        .value_kind:     hidden_block_count_z
      - .offset:         76
        .size:           2
        .value_kind:     hidden_group_size_x
      - .offset:         78
        .size:           2
        .value_kind:     hidden_group_size_y
      - .offset:         80
        .size:           2
        .value_kind:     hidden_group_size_z
      - .offset:         82
        .size:           2
        .value_kind:     hidden_remainder_x
      - .offset:         84
        .size:           2
        .value_kind:     hidden_remainder_y
      - .offset:         86
        .size:           2
        .value_kind:     hidden_remainder_z
      - .offset:         104
        .size:           8
        .value_kind:     hidden_global_offset_x
      - .offset:         112
        .size:           8
        .value_kind:     hidden_global_offset_y
      - .offset:         120
        .size:           8
        .value_kind:     hidden_global_offset_z
      - .offset:         128
        .size:           2
        .value_kind:     hidden_grid_dims
    .group_segment_fixed_size: 0
    .kernarg_segment_align: 8
    .kernarg_segment_size: 320
    .language:       OpenCL C
    .language_version:
      - 2
      - 0
    .max_flat_workgroup_size: 512
    .name:           _ZN2at6native16roll_cuda_kernelIdEEvPKT_PS2_llllll
    .private_segment_fixed_size: 0
    .sgpr_count:     42
    .sgpr_spill_count: 0
    .symbol:         _ZN2at6native16roll_cuda_kernelIdEEvPKT_PS2_llllll.kd
    .uniform_work_group_size: 1
    .uses_dynamic_stack: false
    .vgpr_count:     16
    .vgpr_spill_count: 0
    .wavefront_size: 64
  - .args:
      - .address_space:  global
        .offset:         0
        .size:           8
        .value_kind:     global_buffer
      - .address_space:  global
        .offset:         8
        .size:           8
        .value_kind:     global_buffer
      - .offset:         16
        .size:           8
        .value_kind:     by_value
      - .offset:         24
        .size:           8
        .value_kind:     by_value
      - .offset:         32
        .size:           8
        .value_kind:     by_value
      - .offset:         40
        .size:           8
        .value_kind:     by_value
      - .offset:         48
        .size:           8
        .value_kind:     by_value
      - .offset:         56
        .size:           8
        .value_kind:     by_value
      - .offset:         64
        .size:           4
        .value_kind:     hidden_block_count_x
      - .offset:         68
        .size:           4
        .value_kind:     hidden_block_count_y
      - .offset:         72
        .size:           4
        .value_kind:     hidden_block_count_z
      - .offset:         76
        .size:           2
        .value_kind:     hidden_group_size_x
      - .offset:         78
        .size:           2
        .value_kind:     hidden_group_size_y
      - .offset:         80
        .size:           2
        .value_kind:     hidden_group_size_z
      - .offset:         82
        .size:           2
        .value_kind:     hidden_remainder_x
      - .offset:         84
        .size:           2
        .value_kind:     hidden_remainder_y
      - .offset:         86
        .size:           2
        .value_kind:     hidden_remainder_z
      - .offset:         104
        .size:           8
        .value_kind:     hidden_global_offset_x
      - .offset:         112
        .size:           8
        .value_kind:     hidden_global_offset_y
      - .offset:         120
        .size:           8
        .value_kind:     hidden_global_offset_z
      - .offset:         128
        .size:           2
        .value_kind:     hidden_grid_dims
    .group_segment_fixed_size: 0
    .kernarg_segment_align: 8
    .kernarg_segment_size: 320
    .language:       OpenCL C
    .language_version:
      - 2
      - 0
    .max_flat_workgroup_size: 512
    .name:           _ZN2at6native16roll_cuda_kernelIfEEvPKT_PS2_llllll
    .private_segment_fixed_size: 0
    .sgpr_count:     42
    .sgpr_spill_count: 0
    .symbol:         _ZN2at6native16roll_cuda_kernelIfEEvPKT_PS2_llllll.kd
    .uniform_work_group_size: 1
    .uses_dynamic_stack: false
    .vgpr_count:     16
    .vgpr_spill_count: 0
    .wavefront_size: 64
  - .args:
      - .address_space:  global
        .offset:         0
        .size:           8
        .value_kind:     global_buffer
      - .address_space:  global
        .offset:         8
        .size:           8
        .value_kind:     global_buffer
      - .offset:         16
        .size:           8
        .value_kind:     by_value
      - .offset:         24
        .size:           8
        .value_kind:     by_value
      - .offset:         32
        .size:           8
        .value_kind:     by_value
      - .offset:         40
        .size:           8
        .value_kind:     by_value
      - .offset:         48
        .size:           8
        .value_kind:     by_value
      - .offset:         56
        .size:           8
        .value_kind:     by_value
      - .offset:         64
        .size:           4
        .value_kind:     hidden_block_count_x
      - .offset:         68
        .size:           4
        .value_kind:     hidden_block_count_y
      - .offset:         72
        .size:           4
        .value_kind:     hidden_block_count_z
      - .offset:         76
        .size:           2
        .value_kind:     hidden_group_size_x
      - .offset:         78
        .size:           2
        .value_kind:     hidden_group_size_y
      - .offset:         80
        .size:           2
        .value_kind:     hidden_group_size_z
      - .offset:         82
        .size:           2
        .value_kind:     hidden_remainder_x
      - .offset:         84
        .size:           2
        .value_kind:     hidden_remainder_y
      - .offset:         86
        .size:           2
        .value_kind:     hidden_remainder_z
      - .offset:         104
        .size:           8
        .value_kind:     hidden_global_offset_x
      - .offset:         112
        .size:           8
        .value_kind:     hidden_global_offset_y
      - .offset:         120
        .size:           8
        .value_kind:     hidden_global_offset_z
      - .offset:         128
        .size:           2
        .value_kind:     hidden_grid_dims
    .group_segment_fixed_size: 0
    .kernarg_segment_align: 8
    .kernarg_segment_size: 320
    .language:       OpenCL C
    .language_version:
      - 2
      - 0
    .max_flat_workgroup_size: 512
    .name:           _ZN2at6native16roll_cuda_kernelIN3c107complexIdEEEEvPKT_PS5_llllll
    .private_segment_fixed_size: 0
    .sgpr_count:     42
    .sgpr_spill_count: 0
    .symbol:         _ZN2at6native16roll_cuda_kernelIN3c107complexIdEEEEvPKT_PS5_llllll.kd
    .uniform_work_group_size: 1
    .uses_dynamic_stack: false
    .vgpr_count:     16
    .vgpr_spill_count: 0
    .wavefront_size: 64
  - .args:
      - .address_space:  global
        .offset:         0
        .size:           8
        .value_kind:     global_buffer
      - .address_space:  global
        .offset:         8
        .size:           8
        .value_kind:     global_buffer
      - .offset:         16
        .size:           8
        .value_kind:     by_value
      - .offset:         24
        .size:           8
        .value_kind:     by_value
      - .offset:         32
        .size:           8
        .value_kind:     by_value
      - .offset:         40
        .size:           8
        .value_kind:     by_value
      - .offset:         48
        .size:           8
        .value_kind:     by_value
      - .offset:         56
        .size:           8
        .value_kind:     by_value
      - .offset:         64
        .size:           4
        .value_kind:     hidden_block_count_x
      - .offset:         68
        .size:           4
        .value_kind:     hidden_block_count_y
      - .offset:         72
        .size:           4
        .value_kind:     hidden_block_count_z
      - .offset:         76
        .size:           2
        .value_kind:     hidden_group_size_x
      - .offset:         78
        .size:           2
        .value_kind:     hidden_group_size_y
      - .offset:         80
        .size:           2
        .value_kind:     hidden_group_size_z
      - .offset:         82
        .size:           2
        .value_kind:     hidden_remainder_x
      - .offset:         84
        .size:           2
        .value_kind:     hidden_remainder_y
      - .offset:         86
        .size:           2
        .value_kind:     hidden_remainder_z
      - .offset:         104
        .size:           8
        .value_kind:     hidden_global_offset_x
      - .offset:         112
        .size:           8
        .value_kind:     hidden_global_offset_y
      - .offset:         120
        .size:           8
        .value_kind:     hidden_global_offset_z
      - .offset:         128
        .size:           2
        .value_kind:     hidden_grid_dims
    .group_segment_fixed_size: 0
    .kernarg_segment_align: 8
    .kernarg_segment_size: 320
    .language:       OpenCL C
    .language_version:
      - 2
      - 0
    .max_flat_workgroup_size: 512
    .name:           _ZN2at6native16roll_cuda_kernelIN3c107complexIfEEEEvPKT_PS5_llllll
    .private_segment_fixed_size: 0
    .sgpr_count:     42
    .sgpr_spill_count: 0
    .symbol:         _ZN2at6native16roll_cuda_kernelIN3c107complexIfEEEEvPKT_PS5_llllll.kd
    .uniform_work_group_size: 1
    .uses_dynamic_stack: false
    .vgpr_count:     16
    .vgpr_spill_count: 0
    .wavefront_size: 64
  - .args:
      - .address_space:  global
        .offset:         0
        .size:           8
        .value_kind:     global_buffer
      - .address_space:  global
        .offset:         8
        .size:           8
        .value_kind:     global_buffer
      - .offset:         16
        .size:           8
        .value_kind:     by_value
      - .offset:         24
        .size:           8
        .value_kind:     by_value
      - .offset:         32
        .size:           8
        .value_kind:     by_value
      - .offset:         40
        .size:           8
        .value_kind:     by_value
      - .offset:         48
        .size:           8
        .value_kind:     by_value
      - .offset:         56
        .size:           8
        .value_kind:     by_value
      - .offset:         64
        .size:           4
        .value_kind:     hidden_block_count_x
      - .offset:         68
        .size:           4
        .value_kind:     hidden_block_count_y
      - .offset:         72
        .size:           4
        .value_kind:     hidden_block_count_z
      - .offset:         76
        .size:           2
        .value_kind:     hidden_group_size_x
      - .offset:         78
        .size:           2
        .value_kind:     hidden_group_size_y
      - .offset:         80
        .size:           2
        .value_kind:     hidden_group_size_z
      - .offset:         82
        .size:           2
        .value_kind:     hidden_remainder_x
      - .offset:         84
        .size:           2
        .value_kind:     hidden_remainder_y
      - .offset:         86
        .size:           2
        .value_kind:     hidden_remainder_z
      - .offset:         104
        .size:           8
        .value_kind:     hidden_global_offset_x
      - .offset:         112
        .size:           8
        .value_kind:     hidden_global_offset_y
      - .offset:         120
        .size:           8
        .value_kind:     hidden_global_offset_z
      - .offset:         128
        .size:           2
        .value_kind:     hidden_grid_dims
    .group_segment_fixed_size: 0
    .kernarg_segment_align: 8
    .kernarg_segment_size: 320
    .language:       OpenCL C
    .language_version:
      - 2
      - 0
    .max_flat_workgroup_size: 512
    .name:           _ZN2at6native16roll_cuda_kernelIN3c104HalfEEEvPKT_PS4_llllll
    .private_segment_fixed_size: 0
    .sgpr_count:     42
    .sgpr_spill_count: 0
    .symbol:         _ZN2at6native16roll_cuda_kernelIN3c104HalfEEEvPKT_PS4_llllll.kd
    .uniform_work_group_size: 1
    .uses_dynamic_stack: false
    .vgpr_count:     16
    .vgpr_spill_count: 0
    .wavefront_size: 64
  - .args:
      - .address_space:  global
        .offset:         0
        .size:           8
        .value_kind:     global_buffer
      - .address_space:  global
        .offset:         8
        .size:           8
        .value_kind:     global_buffer
      - .offset:         16
        .size:           8
        .value_kind:     by_value
      - .offset:         24
        .size:           8
        .value_kind:     by_value
      - .offset:         32
        .size:           8
        .value_kind:     by_value
      - .offset:         40
        .size:           8
        .value_kind:     by_value
      - .offset:         48
        .size:           8
        .value_kind:     by_value
      - .offset:         56
        .size:           8
        .value_kind:     by_value
      - .offset:         64
        .size:           4
        .value_kind:     hidden_block_count_x
      - .offset:         68
        .size:           4
        .value_kind:     hidden_block_count_y
      - .offset:         72
        .size:           4
        .value_kind:     hidden_block_count_z
      - .offset:         76
        .size:           2
        .value_kind:     hidden_group_size_x
      - .offset:         78
        .size:           2
        .value_kind:     hidden_group_size_y
      - .offset:         80
        .size:           2
        .value_kind:     hidden_group_size_z
      - .offset:         82
        .size:           2
        .value_kind:     hidden_remainder_x
      - .offset:         84
        .size:           2
        .value_kind:     hidden_remainder_y
      - .offset:         86
        .size:           2
        .value_kind:     hidden_remainder_z
      - .offset:         104
        .size:           8
        .value_kind:     hidden_global_offset_x
      - .offset:         112
        .size:           8
        .value_kind:     hidden_global_offset_y
      - .offset:         120
        .size:           8
        .value_kind:     hidden_global_offset_z
      - .offset:         128
        .size:           2
        .value_kind:     hidden_grid_dims
    .group_segment_fixed_size: 0
    .kernarg_segment_align: 8
    .kernarg_segment_size: 320
    .language:       OpenCL C
    .language_version:
      - 2
      - 0
    .max_flat_workgroup_size: 512
    .name:           _ZN2at6native16roll_cuda_kernelIbEEvPKT_PS2_llllll
    .private_segment_fixed_size: 0
    .sgpr_count:     40
    .sgpr_spill_count: 0
    .symbol:         _ZN2at6native16roll_cuda_kernelIbEEvPKT_PS2_llllll.kd
    .uniform_work_group_size: 1
    .uses_dynamic_stack: false
    .vgpr_count:     14
    .vgpr_spill_count: 0
    .wavefront_size: 64
  - .args:
      - .address_space:  global
        .offset:         0
        .size:           8
        .value_kind:     global_buffer
      - .address_space:  global
        .offset:         8
        .size:           8
        .value_kind:     global_buffer
      - .offset:         16
        .size:           8
        .value_kind:     by_value
      - .offset:         24
        .size:           8
        .value_kind:     by_value
      - .offset:         32
        .size:           8
        .value_kind:     by_value
      - .offset:         40
        .size:           8
        .value_kind:     by_value
      - .offset:         48
        .size:           8
        .value_kind:     by_value
      - .offset:         56
        .size:           8
        .value_kind:     by_value
      - .offset:         64
        .size:           4
        .value_kind:     hidden_block_count_x
      - .offset:         68
        .size:           4
        .value_kind:     hidden_block_count_y
      - .offset:         72
        .size:           4
        .value_kind:     hidden_block_count_z
      - .offset:         76
        .size:           2
        .value_kind:     hidden_group_size_x
      - .offset:         78
        .size:           2
        .value_kind:     hidden_group_size_y
      - .offset:         80
        .size:           2
        .value_kind:     hidden_group_size_z
      - .offset:         82
        .size:           2
        .value_kind:     hidden_remainder_x
      - .offset:         84
        .size:           2
        .value_kind:     hidden_remainder_y
      - .offset:         86
        .size:           2
        .value_kind:     hidden_remainder_z
      - .offset:         104
        .size:           8
        .value_kind:     hidden_global_offset_x
      - .offset:         112
        .size:           8
        .value_kind:     hidden_global_offset_y
      - .offset:         120
        .size:           8
        .value_kind:     hidden_global_offset_z
      - .offset:         128
        .size:           2
        .value_kind:     hidden_grid_dims
    .group_segment_fixed_size: 0
    .kernarg_segment_align: 8
    .kernarg_segment_size: 320
    .language:       OpenCL C
    .language_version:
      - 2
      - 0
    .max_flat_workgroup_size: 512
    .name:           _ZN2at6native16roll_cuda_kernelIN3c108BFloat16EEEvPKT_PS4_llllll
    .private_segment_fixed_size: 0
    .sgpr_count:     42
    .sgpr_spill_count: 0
    .symbol:         _ZN2at6native16roll_cuda_kernelIN3c108BFloat16EEEvPKT_PS4_llllll.kd
    .uniform_work_group_size: 1
    .uses_dynamic_stack: false
    .vgpr_count:     16
    .vgpr_spill_count: 0
    .wavefront_size: 64
  - .args:
      - .address_space:  global
        .offset:         0
        .size:           8
        .value_kind:     global_buffer
      - .address_space:  global
        .offset:         8
        .size:           8
        .value_kind:     global_buffer
      - .offset:         16
        .size:           8
        .value_kind:     by_value
      - .offset:         24
        .size:           8
        .value_kind:     by_value
      - .offset:         32
        .size:           8
        .value_kind:     by_value
      - .offset:         40
        .size:           8
        .value_kind:     by_value
      - .offset:         48
        .size:           8
        .value_kind:     by_value
      - .offset:         56
        .size:           8
        .value_kind:     by_value
      - .offset:         64
        .size:           4
        .value_kind:     hidden_block_count_x
      - .offset:         68
        .size:           4
        .value_kind:     hidden_block_count_y
      - .offset:         72
        .size:           4
        .value_kind:     hidden_block_count_z
      - .offset:         76
        .size:           2
        .value_kind:     hidden_group_size_x
      - .offset:         78
        .size:           2
        .value_kind:     hidden_group_size_y
      - .offset:         80
        .size:           2
        .value_kind:     hidden_group_size_z
      - .offset:         82
        .size:           2
        .value_kind:     hidden_remainder_x
      - .offset:         84
        .size:           2
        .value_kind:     hidden_remainder_y
      - .offset:         86
        .size:           2
        .value_kind:     hidden_remainder_z
      - .offset:         104
        .size:           8
        .value_kind:     hidden_global_offset_x
      - .offset:         112
        .size:           8
        .value_kind:     hidden_global_offset_y
      - .offset:         120
        .size:           8
        .value_kind:     hidden_global_offset_z
      - .offset:         128
        .size:           2
        .value_kind:     hidden_grid_dims
    .group_segment_fixed_size: 0
    .kernarg_segment_align: 8
    .kernarg_segment_size: 320
    .language:       OpenCL C
    .language_version:
      - 2
      - 0
    .max_flat_workgroup_size: 512
    .name:           _ZN2at6native16roll_cuda_kernelIN3c107complexINS2_4HalfEEEEEvPKT_PS6_llllll
    .private_segment_fixed_size: 0
    .sgpr_count:     42
    .sgpr_spill_count: 0
    .symbol:         _ZN2at6native16roll_cuda_kernelIN3c107complexINS2_4HalfEEEEEvPKT_PS6_llllll.kd
    .uniform_work_group_size: 1
    .uses_dynamic_stack: false
    .vgpr_count:     16
    .vgpr_spill_count: 0
    .wavefront_size: 64
amdhsa.target:   amdgcn-amd-amdhsa--gfx906
amdhsa.version:
  - 1
  - 2
...

	.end_amdgpu_metadata
